;; amdgpu-corpus repo=ROCm/rocFFT kind=compiled arch=gfx1030 opt=O3
	.text
	.amdgcn_target "amdgcn-amd-amdhsa--gfx1030"
	.amdhsa_code_object_version 6
	.protected	bluestein_single_back_len1573_dim1_dp_op_CI_CI ; -- Begin function bluestein_single_back_len1573_dim1_dp_op_CI_CI
	.globl	bluestein_single_back_len1573_dim1_dp_op_CI_CI
	.p2align	8
	.type	bluestein_single_back_len1573_dim1_dp_op_CI_CI,@function
bluestein_single_back_len1573_dim1_dp_op_CI_CI: ; @bluestein_single_back_len1573_dim1_dp_op_CI_CI
; %bb.0:
	s_load_dwordx4 s[0:3], s[4:5], 0x28
	v_mul_u32_u24_e32 v1, 0x1cb, v0
	v_mov_b32_e32 v133, 0
	v_lshrrev_b32_e32 v1, 16, v1
	v_add_nc_u32_e32 v132, s6, v1
	s_waitcnt lgkmcnt(0)
	v_cmp_gt_u64_e32 vcc_lo, s[0:1], v[132:133]
	s_and_saveexec_b32 s0, vcc_lo
	s_cbranch_execz .LBB0_15
; %bb.1:
	s_clause 0x1
	s_load_dwordx2 s[14:15], s[4:5], 0x0
	s_load_dwordx2 s[12:13], s[4:5], 0x38
	v_mul_lo_u16 v1, 0x8f, v1
	v_sub_nc_u16 v0, v0, v1
	v_and_b32_e32 v180, 0xffff, v0
	v_cmp_gt_u16_e32 vcc_lo, 0x79, v0
	v_lshlrev_b32_e32 v179, 4, v180
	s_and_saveexec_b32 s1, vcc_lo
	s_cbranch_execz .LBB0_3
; %bb.2:
	s_load_dwordx2 s[6:7], s[4:5], 0x18
	s_waitcnt lgkmcnt(0)
	v_add_co_u32 v90, s0, s14, v179
	v_add_co_ci_u32_e64 v91, null, s15, 0, s0
	v_add_co_u32 v8, s0, 0x800, v90
	v_add_co_ci_u32_e64 v9, s0, 0, v91, s0
	v_add_co_u32 v12, s0, 0x1000, v90
	v_add_co_ci_u32_e64 v13, s0, 0, v91, s0
	;; [unrolled: 2-line block ×3, first 2 shown]
	v_add_co_u32 v20, s0, 0x2000, v90
	s_load_dwordx4 s[8:11], s[6:7], 0x0
	v_add_co_ci_u32_e64 v21, s0, 0, v91, s0
	v_add_co_u32 v24, s0, 0x2800, v90
	v_add_co_ci_u32_e64 v25, s0, 0, v91, s0
	v_add_co_u32 v28, s0, 0x3000, v90
	;; [unrolled: 2-line block ×5, first 2 shown]
	s_waitcnt lgkmcnt(0)
	v_mad_u64_u32 v[22:23], null, s10, v132, 0
	v_mad_u64_u32 v[26:27], null, s8, v180, 0
	v_add_co_ci_u32_e64 v85, s0, 0, v91, s0
	s_mul_i32 s6, s9, 0x790
	s_mul_hi_u32 s7, s8, 0x790
	v_mov_b32_e32 v10, v23
	s_add_i32 s7, s7, s6
	v_mov_b32_e32 v11, v27
	s_clause 0x1
	global_load_dwordx4 v[0:3], v179, s[14:15]
	global_load_dwordx4 v[4:7], v179, s[14:15] offset:1936
	v_mad_u64_u32 v[14:15], null, s11, v132, v[10:11]
	v_mad_u64_u32 v[30:31], null, s9, v180, v[11:12]
	v_mov_b32_e32 v23, v14
	s_clause 0x2
	global_load_dwordx4 v[8:11], v[8:9], off offset:1824
	global_load_dwordx4 v[12:15], v[12:13], off offset:1712
	global_load_dwordx4 v[16:19], v[16:17], off offset:1600
	v_mov_b32_e32 v27, v30
	s_clause 0x1
	global_load_dwordx4 v[36:39], v[36:37], off offset:1040
	global_load_dwordx4 v[32:35], v[32:33], off offset:1152
	v_lshlrev_b64 v[30:31], 4, v[22:23]
	global_load_dwordx4 v[20:23], v[20:21], off offset:1488
	v_lshlrev_b64 v[26:27], 4, v[26:27]
	v_add_co_u32 v30, s0, s2, v30
	v_add_co_ci_u32_e64 v31, s0, s3, v31, s0
	s_mul_i32 s2, s8, 0x790
	v_add_co_u32 v40, s0, v30, v26
	v_add_co_ci_u32_e64 v41, s0, v31, v27, s0
	global_load_dwordx4 v[24:27], v[24:25], off offset:1376
	v_add_co_u32 v44, s0, v40, s2
	v_add_co_ci_u32_e64 v45, s0, s7, v41, s0
	global_load_dwordx4 v[28:31], v[28:29], off offset:1264
	v_add_co_u32 v48, s0, v44, s2
	v_add_co_ci_u32_e64 v49, s0, s7, v45, s0
	s_clause 0x1
	global_load_dwordx4 v[40:43], v[40:41], off
	global_load_dwordx4 v[44:47], v[44:45], off
	v_add_co_u32 v52, s0, v48, s2
	v_add_co_ci_u32_e64 v53, s0, s7, v49, s0
	global_load_dwordx4 v[48:51], v[48:49], off
	v_add_co_u32 v56, s0, v52, s2
	v_add_co_ci_u32_e64 v57, s0, s7, v53, s0
	;; [unrolled: 3-line block ×5, first 2 shown]
	v_add_co_u32 v72, s0, v68, s2
	v_add_co_ci_u32_e64 v73, s0, s7, v69, s0
	v_add_co_u32 v76, s0, v72, s2
	v_add_co_ci_u32_e64 v77, s0, s7, v73, s0
	;; [unrolled: 2-line block ×3, first 2 shown]
	global_load_dwordx4 v[64:67], v[64:65], off
	global_load_dwordx4 v[68:71], v[68:69], off
	;; [unrolled: 1-line block ×5, first 2 shown]
	v_add_co_u32 v88, s0, v86, s2
	v_add_co_ci_u32_e64 v89, s0, s7, v87, s0
	v_add_co_u32 v92, s0, 0x5000, v90
	v_add_co_ci_u32_e64 v93, s0, 0, v91, s0
	;; [unrolled: 2-line block ×4, first 2 shown]
	global_load_dwordx4 v[84:87], v[84:85], off offset:928
	global_load_dwordx4 v[88:91], v[88:89], off
	s_clause 0x1
	global_load_dwordx4 v[92:95], v[92:93], off offset:816
	global_load_dwordx4 v[96:99], v[96:97], off offset:704
	global_load_dwordx4 v[100:103], v[100:101], off
	s_waitcnt vmcnt(15)
	v_mul_f64 v[104:105], v[42:43], v[2:3]
	v_mul_f64 v[2:3], v[40:41], v[2:3]
	s_waitcnt vmcnt(14)
	v_mul_f64 v[106:107], v[46:47], v[6:7]
	v_mul_f64 v[6:7], v[44:45], v[6:7]
	;; [unrolled: 3-line block ×5, first 2 shown]
	v_fma_f64 v[40:41], v[40:41], v[0:1], v[104:105]
	s_waitcnt vmcnt(10)
	v_mul_f64 v[104:105], v[62:63], v[22:23]
	v_mul_f64 v[22:23], v[60:61], v[22:23]
	v_fma_f64 v[42:43], v[42:43], v[0:1], -v[2:3]
	v_fma_f64 v[0:1], v[44:45], v[4:5], v[106:107]
	v_fma_f64 v[2:3], v[46:47], v[4:5], -v[6:7]
	v_fma_f64 v[4:5], v[48:49], v[8:9], v[108:109]
	;; [unrolled: 2-line block ×3, first 2 shown]
	v_fma_f64 v[10:11], v[54:55], v[12:13], -v[14:15]
	s_waitcnt vmcnt(9)
	v_mul_f64 v[44:45], v[66:67], v[26:27]
	v_mul_f64 v[26:27], v[64:65], v[26:27]
	s_waitcnt vmcnt(8)
	v_mul_f64 v[46:47], v[70:71], v[30:31]
	v_mul_f64 v[30:31], v[68:69], v[30:31]
	s_waitcnt vmcnt(7)
	v_mul_f64 v[106:107], v[74:75], v[34:35]
	v_mul_f64 v[34:35], v[72:73], v[34:35]
	s_waitcnt vmcnt(6)
	v_mul_f64 v[114:115], v[78:79], v[38:39]
	v_mul_f64 v[38:39], v[76:77], v[38:39]
	v_fma_f64 v[12:13], v[56:57], v[16:17], v[112:113]
	v_fma_f64 v[14:15], v[58:59], v[16:17], -v[18:19]
	v_fma_f64 v[16:17], v[60:61], v[20:21], v[104:105]
	v_fma_f64 v[18:19], v[62:63], v[20:21], -v[22:23]
	s_waitcnt vmcnt(4)
	v_mul_f64 v[116:117], v[82:83], v[86:87]
	v_mul_f64 v[86:87], v[80:81], v[86:87]
	s_waitcnt vmcnt(2)
	v_mul_f64 v[118:119], v[90:91], v[94:95]
	v_mul_f64 v[94:95], v[88:89], v[94:95]
	;; [unrolled: 3-line block ×3, first 2 shown]
	v_fma_f64 v[20:21], v[64:65], v[24:25], v[44:45]
	v_fma_f64 v[22:23], v[66:67], v[24:25], -v[26:27]
	v_fma_f64 v[24:25], v[68:69], v[28:29], v[46:47]
	v_fma_f64 v[26:27], v[70:71], v[28:29], -v[30:31]
	;; [unrolled: 2-line block ×7, first 2 shown]
	ds_write_b128 v179, v[40:43]
	ds_write_b128 v179, v[0:3] offset:1936
	ds_write_b128 v179, v[4:7] offset:3872
	;; [unrolled: 1-line block ×12, first 2 shown]
.LBB0_3:
	s_or_b32 exec_lo, exec_lo, s1
	s_clause 0x1
	s_load_dwordx2 s[2:3], s[4:5], 0x20
	s_load_dwordx2 s[0:1], s[4:5], 0x8
	s_waitcnt lgkmcnt(0)
	s_barrier
	buffer_gl0_inv
                                        ; implicit-def: $vgpr20_vgpr21
                                        ; implicit-def: $vgpr56_vgpr57
                                        ; implicit-def: $vgpr52_vgpr53
                                        ; implicit-def: $vgpr48_vgpr49
                                        ; implicit-def: $vgpr44_vgpr45
                                        ; implicit-def: $vgpr40_vgpr41
                                        ; implicit-def: $vgpr36_vgpr37
                                        ; implicit-def: $vgpr32_vgpr33
                                        ; implicit-def: $vgpr28_vgpr29
                                        ; implicit-def: $vgpr24_vgpr25
                                        ; implicit-def: $vgpr16_vgpr17
                                        ; implicit-def: $vgpr12_vgpr13
                                        ; implicit-def: $vgpr8_vgpr9
	s_and_saveexec_b32 s4, vcc_lo
	s_cbranch_execz .LBB0_5
; %bb.4:
	ds_read_b128 v[20:23], v179
	ds_read_b128 v[56:59], v179 offset:1936
	ds_read_b128 v[52:55], v179 offset:3872
	;; [unrolled: 1-line block ×12, first 2 shown]
.LBB0_5:
	s_or_b32 exec_lo, exec_lo, s4
	s_waitcnt lgkmcnt(0)
	v_add_f64 v[149:150], v[58:59], -v[10:11]
	v_add_f64 v[66:67], v[56:57], -v[8:9]
	s_mov_b32 s4, 0x4267c47c
	s_mov_b32 s6, 0x42a4c3d2
	;; [unrolled: 1-line block ×4, first 2 shown]
	v_add_f64 v[64:65], v[56:57], v[8:9]
	v_add_f64 v[151:152], v[58:59], v[10:11]
	v_add_f64 v[60:61], v[54:55], -v[14:15]
	v_add_f64 v[62:63], v[52:53], -v[12:13]
	s_mov_b32 s10, 0xe00740e9
	s_mov_b32 s8, 0x1ea71119
	;; [unrolled: 1-line block ×6, first 2 shown]
	v_add_f64 v[84:85], v[52:53], v[12:13]
	v_add_f64 v[147:148], v[54:55], v[14:15]
	v_add_f64 v[133:134], v[50:51], -v[18:19]
	v_add_f64 v[108:109], v[48:49], -v[16:17]
	s_mov_b32 s28, 0x66966769
	s_mov_b32 s26, 0xb2365da1
	v_mul_f64 v[68:69], v[149:150], s[4:5]
	v_mul_f64 v[70:71], v[66:67], s[4:5]
	;; [unrolled: 1-line block ×4, first 2 shown]
	s_mov_b32 s34, 0x4bc48dbf
	s_mov_b32 s29, 0xbfefc445
	;; [unrolled: 1-line block ×4, first 2 shown]
	v_mul_f64 v[92:93], v[60:61], s[6:7]
	v_mul_f64 v[116:117], v[62:63], s[6:7]
	;; [unrolled: 1-line block ×4, first 2 shown]
	v_add_f64 v[120:121], v[48:49], v[16:17]
	v_add_f64 v[145:146], v[50:51], v[18:19]
	v_add_f64 v[72:73], v[44:45], -v[24:25]
	v_add_f64 v[88:89], v[46:47], -v[26:27]
	s_mov_b32 s30, 0xebaa3ed8
	s_mov_b32 s16, 0x24c2f84
	v_mul_f64 v[86:87], v[133:134], s[28:29]
	v_mul_f64 v[112:113], v[108:109], s[28:29]
	;; [unrolled: 1-line block ×4, first 2 shown]
	v_fma_f64 v[0:1], v[64:65], s[10:11], v[68:69]
	v_fma_f64 v[2:3], v[151:152], s[10:11], -v[70:71]
	v_fma_f64 v[4:5], v[64:65], s[8:9], v[153:154]
	v_fma_f64 v[6:7], v[151:152], s[8:9], -v[155:156]
	s_mov_b32 s24, 0x93053d00
	s_mov_b32 s31, 0x3fbedb7d
	;; [unrolled: 1-line block ×4, first 2 shown]
	v_fma_f64 v[76:77], v[84:85], s[8:9], v[92:93]
	v_fma_f64 v[80:81], v[147:148], s[8:9], -v[116:117]
	v_fma_f64 v[82:83], v[84:85], s[26:27], v[130:131]
	v_fma_f64 v[98:99], v[147:148], s[26:27], -v[139:140]
	v_add_f64 v[78:79], v[44:45], v[24:25]
	v_add_f64 v[137:138], v[46:47], v[26:27]
	v_add_f64 v[74:75], v[40:41], -v[28:29]
	v_add_f64 v[96:97], v[42:43], -v[30:31]
	v_mul_f64 v[90:91], v[88:89], s[20:21]
	v_mul_f64 v[94:95], v[72:73], s[20:21]
	;; [unrolled: 1-line block ×4, first 2 shown]
	v_fma_f64 v[102:103], v[120:121], s[30:31], v[86:87]
	v_fma_f64 v[114:115], v[145:146], s[30:31], -v[112:113]
	v_add_f64 v[0:1], v[20:21], v[0:1]
	v_add_f64 v[2:3], v[22:23], v[2:3]
	;; [unrolled: 1-line block ×4, first 2 shown]
	v_fma_f64 v[126:127], v[120:121], s[24:25], v[128:129]
	v_fma_f64 v[143:144], v[145:146], s[24:25], -v[135:136]
	s_mov_b32 s18, 0xd0032e0c
	s_mov_b32 s23, 0xbfe5384d
	;; [unrolled: 1-line block ×6, first 2 shown]
	v_add_f64 v[141:142], v[42:43], v[30:31]
	v_add_f64 v[106:107], v[38:39], -v[34:35]
	v_mul_f64 v[110:111], v[74:75], s[22:23]
	v_mul_f64 v[100:101], v[96:97], s[22:23]
	;; [unrolled: 1-line block ×4, first 2 shown]
	v_fma_f64 v[157:158], v[78:79], s[26:27], v[90:91]
	v_fma_f64 v[159:160], v[137:138], s[26:27], -v[94:95]
	v_fma_f64 v[161:162], v[78:79], s[18:19], v[104:105]
	v_fma_f64 v[163:164], v[137:138], s[18:19], -v[122:123]
	v_add_f64 v[0:1], v[76:77], v[0:1]
	v_add_f64 v[2:3], v[80:81], v[2:3]
	v_add_f64 v[4:5], v[82:83], v[4:5]
	v_add_f64 v[6:7], v[98:99], v[6:7]
	v_add_f64 v[80:81], v[40:41], v[28:29]
	v_add_f64 v[76:77], v[36:37], -v[32:33]
	s_mov_b32 s39, 0x3fddbe06
	s_mov_b32 s38, s4
	v_add_f64 v[82:83], v[36:37], v[32:33]
	v_mul_lo_u16 v181, v180, 13
	s_barrier
	buffer_gl0_inv
	v_mul_f64 v[98:99], v[106:107], s[34:35]
	v_fma_f64 v[167:168], v[141:142], s[18:19], -v[110:111]
	v_fma_f64 v[171:172], v[141:142], s[30:31], -v[124:125]
	v_add_f64 v[0:1], v[102:103], v[0:1]
	v_add_f64 v[2:3], v[114:115], v[2:3]
	;; [unrolled: 1-line block ×5, first 2 shown]
	v_mul_f64 v[102:103], v[76:77], s[34:35]
	v_mul_f64 v[114:115], v[106:107], s[38:39]
	;; [unrolled: 1-line block ×3, first 2 shown]
	v_fma_f64 v[165:166], v[80:81], s[18:19], v[100:101]
	v_fma_f64 v[169:170], v[80:81], s[30:31], v[118:119]
	v_add_f64 v[0:1], v[157:158], v[0:1]
	v_add_f64 v[2:3], v[159:160], v[2:3]
	;; [unrolled: 1-line block ×4, first 2 shown]
	v_fma_f64 v[157:158], v[82:83], s[24:25], v[98:99]
	v_fma_f64 v[159:160], v[143:144], s[24:25], -v[102:103]
	v_fma_f64 v[161:162], v[82:83], s[10:11], v[114:115]
	v_fma_f64 v[163:164], v[143:144], s[10:11], -v[126:127]
	v_add_f64 v[0:1], v[165:166], v[0:1]
	v_add_f64 v[2:3], v[167:168], v[2:3]
	;; [unrolled: 1-line block ×8, first 2 shown]
	s_and_saveexec_b32 s33, vcc_lo
	s_cbranch_execz .LBB0_7
; %bb.6:
	v_add_f64 v[58:59], v[22:23], v[58:59]
	v_add_f64 v[56:57], v[20:21], v[56:57]
	v_mul_f64 v[157:158], v[151:152], s[24:25]
	s_mov_b32 s41, 0x3fcea1e5
	s_mov_b32 s40, s34
	v_mul_f64 v[169:170], v[147:148], s[10:11]
	v_mul_f64 v[167:168], v[149:150], s[34:35]
	;; [unrolled: 1-line block ×13, first 2 shown]
	s_mov_b32 s43, 0x3fedeba7
	s_mov_b32 s42, s20
	v_mul_f64 v[186:187], v[133:134], s[22:23]
	v_mul_f64 v[159:160], v[64:65], s[10:11]
	v_add_f64 v[54:55], v[58:59], v[54:55]
	v_add_f64 v[52:53], v[56:57], v[52:53]
	v_fma_f64 v[56:57], v[66:67], s[40:41], v[157:158]
	v_fma_f64 v[157:158], v[66:67], s[34:35], v[157:158]
	v_mul_f64 v[58:59], v[151:152], s[30:31]
	v_fma_f64 v[206:207], v[62:63], s[4:5], v[169:170]
	v_mul_f64 v[151:152], v[60:61], s[38:39]
	v_fma_f64 v[204:205], v[64:65], s[24:25], v[167:168]
	v_fma_f64 v[167:168], v[64:65], s[24:25], -v[167:168]
	v_fma_f64 v[208:209], v[66:67], s[16:17], v[173:174]
	v_fma_f64 v[210:211], v[64:65], s[18:19], v[175:176]
	;; [unrolled: 1-line block ×5, first 2 shown]
	v_mul_f64 v[163:164], v[64:65], s[8:9]
	v_mul_f64 v[192:193], v[133:134], s[6:7]
	v_fma_f64 v[177:178], v[108:109], s[22:23], v[177:178]
	v_fma_f64 v[226:227], v[84:85], s[30:31], v[194:195]
	;; [unrolled: 1-line block ×3, first 2 shown]
	s_mov_b32 s45, 0x3fea55e2
	s_mov_b32 s44, s6
	v_mul_f64 v[196:197], v[147:148], s[18:19]
	v_add_f64 v[50:51], v[54:55], v[50:51]
	v_add_f64 v[48:49], v[52:53], v[48:49]
	;; [unrolled: 1-line block ×4, first 2 shown]
	v_mul_f64 v[218:219], v[88:89], s[44:45]
	v_fma_f64 v[224:225], v[62:63], s[28:29], v[190:191]
	v_fma_f64 v[222:223], v[84:85], s[10:11], v[151:152]
	v_fma_f64 v[151:152], v[84:85], s[10:11], -v[151:152]
	v_add_f64 v[167:168], v[20:21], v[167:168]
	v_add_f64 v[204:205], v[20:21], v[204:205]
	;; [unrolled: 1-line block ×4, first 2 shown]
	v_fma_f64 v[230:231], v[120:121], s[18:19], v[186:187]
	v_fma_f64 v[186:187], v[120:121], s[18:19], -v[186:187]
	v_mul_f64 v[188:189], v[145:146], s[8:9]
	v_mul_f64 v[198:199], v[141:142], s[26:27]
	;; [unrolled: 1-line block ×4, first 2 shown]
	v_fma_f64 v[234:235], v[120:121], s[8:9], v[192:193]
	v_fma_f64 v[171:172], v[72:73], s[44:45], v[171:172]
	v_mul_f64 v[202:203], v[96:97], s[20:21]
	v_mul_f64 v[200:201], v[137:138], s[24:25]
	v_add_f64 v[46:47], v[50:51], v[46:47]
	v_add_f64 v[44:45], v[48:49], v[44:45]
	;; [unrolled: 1-line block ×3, first 2 shown]
	v_fma_f64 v[50:51], v[64:65], s[18:19], -v[175:176]
	v_fma_f64 v[52:53], v[66:67], s[42:43], v[182:183]
	v_fma_f64 v[175:176], v[64:65], s[26:27], v[184:185]
	v_fma_f64 v[182:183], v[66:67], s[20:21], v[182:183]
	v_fma_f64 v[184:185], v[64:65], s[26:27], -v[184:185]
	v_fma_f64 v[206:207], v[66:67], s[36:37], v[58:59]
	v_fma_f64 v[58:59], v[66:67], s[28:29], v[58:59]
	;; [unrolled: 1-line block ×3, first 2 shown]
	v_add_f64 v[157:158], v[169:170], v[157:158]
	v_fma_f64 v[64:65], v[64:65], s[30:31], -v[149:150]
	v_fma_f64 v[149:150], v[84:85], s[30:31], -v[194:195]
	v_add_f64 v[151:152], v[151:152], v[167:168]
	v_add_f64 v[204:205], v[222:223], v[204:205]
	;; [unrolled: 1-line block ×4, first 2 shown]
	v_fma_f64 v[208:209], v[78:79], s[8:9], -v[218:219]
	v_mul_f64 v[54:55], v[145:146], s[10:11]
	v_mul_f64 v[216:217], v[133:134], s[38:39]
	v_fma_f64 v[232:233], v[108:109], s[44:45], v[188:189]
	v_add_f64 v[42:43], v[46:47], v[42:43]
	v_add_f64 v[40:41], v[44:45], v[40:41]
	;; [unrolled: 1-line block ×3, first 2 shown]
	v_fma_f64 v[46:47], v[62:63], s[36:37], v[190:191]
	v_add_f64 v[48:49], v[22:23], v[173:174]
	v_add_f64 v[50:51], v[20:21], v[50:51]
	;; [unrolled: 1-line block ×3, first 2 shown]
	v_fma_f64 v[165:166], v[62:63], s[22:23], v[196:197]
	v_fma_f64 v[190:191], v[74:75], s[42:43], v[198:199]
	;; [unrolled: 1-line block ×4, first 2 shown]
	v_add_f64 v[157:158], v[177:178], v[157:158]
	v_add_f64 v[52:53], v[22:23], v[52:53]
	;; [unrolled: 1-line block ×6, first 2 shown]
	v_fma_f64 v[161:162], v[84:85], s[18:19], v[56:57]
	v_add_f64 v[175:176], v[20:21], v[175:176]
	v_mul_f64 v[212:213], v[84:85], s[8:9]
	v_mul_f64 v[214:215], v[137:138], s[30:31]
	v_fma_f64 v[173:174], v[72:73], s[34:35], v[200:201]
	v_add_f64 v[38:39], v[42:43], v[38:39]
	v_add_f64 v[36:37], v[40:41], v[36:37]
	;; [unrolled: 1-line block ×3, first 2 shown]
	v_fma_f64 v[42:43], v[108:109], s[6:7], v[188:189]
	v_add_f64 v[44:45], v[46:47], v[48:49]
	v_fma_f64 v[48:49], v[120:121], s[8:9], -v[192:193]
	v_add_f64 v[50:51], v[149:150], v[50:51]
	v_add_f64 v[46:47], v[163:164], -v[153:154]
	v_fma_f64 v[163:164], v[62:63], s[16:17], v[196:197]
	v_add_f64 v[167:168], v[232:233], v[167:168]
	v_add_f64 v[68:69], v[159:160], -v[68:69]
	v_add_f64 v[157:158], v[171:172], v[157:158]
	v_fma_f64 v[171:172], v[78:79], s[24:25], -v[220:221]
	v_fma_f64 v[149:150], v[80:81], s[26:27], v[202:203]
	v_add_f64 v[151:152], v[208:209], v[151:152]
	v_fma_f64 v[159:160], v[108:109], s[4:5], v[54:55]
	v_add_f64 v[52:53], v[165:166], v[52:53]
	v_add_f64 v[165:166], v[194:195], v[204:205]
	;; [unrolled: 1-line block ×4, first 2 shown]
	v_fma_f64 v[175:176], v[120:121], s[10:11], v[216:217]
	v_fma_f64 v[54:55], v[108:109], s[38:39], v[54:55]
	v_add_f64 v[34:35], v[38:39], v[34:35]
	v_add_f64 v[32:33], v[36:37], v[32:33]
	;; [unrolled: 1-line block ×3, first 2 shown]
	v_fma_f64 v[182:183], v[80:81], s[26:27], -v[202:203]
	v_add_f64 v[36:37], v[190:191], v[40:41]
	v_add_f64 v[40:41], v[42:43], v[44:45]
	;; [unrolled: 1-line block ×3, first 2 shown]
	v_mul_f64 v[50:51], v[96:97], s[38:39]
	v_mul_f64 v[42:43], v[141:142], s[10:11]
	v_fma_f64 v[44:45], v[72:73], s[40:41], v[200:201]
	v_mul_f64 v[60:61], v[60:61], s[34:35]
	v_add_f64 v[155:156], v[22:23], v[155:156]
	v_fma_f64 v[153:154], v[74:75], s[20:21], v[198:199]
	v_add_f64 v[167:168], v[173:174], v[167:168]
	v_add_f64 v[173:174], v[20:21], v[184:185]
	;; [unrolled: 1-line block ×12, first 2 shown]
	v_mul_f64 v[163:164], v[147:148], s[8:9]
	v_mul_f64 v[32:33], v[147:148], s[24:25]
	;; [unrolled: 1-line block ×3, first 2 shown]
	v_add_f64 v[48:49], v[171:172], v[48:49]
	v_fma_f64 v[171:172], v[80:81], s[10:11], v[50:51]
	v_mul_f64 v[34:35], v[84:85], s[26:27]
	v_add_f64 v[151:152], v[182:183], v[151:152]
	v_mul_f64 v[182:183], v[145:146], s[24:25]
	v_mul_f64 v[68:69], v[141:142], s[24:25]
	v_fma_f64 v[70:71], v[72:73], s[36:37], v[214:215]
	v_add_f64 v[52:53], v[159:160], v[52:53]
	v_mul_f64 v[159:160], v[88:89], s[28:29]
	v_add_f64 v[40:41], v[44:45], v[40:41]
	v_fma_f64 v[44:45], v[74:75], s[4:5], v[42:43]
	v_fma_f64 v[42:43], v[74:75], s[38:39], v[42:43]
	v_add_f64 v[149:150], v[149:150], v[165:166]
	v_mul_f64 v[165:166], v[120:121], s[30:31]
	v_add_f64 v[161:162], v[175:176], v[161:162]
	v_mul_f64 v[175:176], v[145:146], s[30:31]
	v_mul_f64 v[145:146], v[145:146], s[26:27]
	v_add_f64 v[92:93], v[212:213], -v[92:93]
	v_fma_f64 v[50:51], v[80:81], s[10:11], -v[50:51]
	v_add_f64 v[116:117], v[116:117], v[163:164]
	v_add_f64 v[38:39], v[54:55], v[38:39]
	;; [unrolled: 1-line block ×3, first 2 shown]
	v_mul_f64 v[54:55], v[120:121], s[24:25]
	v_add_f64 v[169:170], v[171:172], v[169:170]
	v_fma_f64 v[171:172], v[62:63], s[40:41], v[32:33]
	v_fma_f64 v[32:33], v[62:63], s[34:35], v[32:33]
	v_add_f64 v[34:35], v[34:35], -v[130:131]
	v_mul_f64 v[133:134], v[133:134], s[42:43]
	v_fma_f64 v[188:189], v[84:85], s[24:25], v[60:61]
	v_fma_f64 v[60:61], v[84:85], s[24:25], -v[60:61]
	v_fma_f64 v[56:57], v[84:85], s[18:19], -v[56:57]
	v_mul_f64 v[62:63], v[137:138], s[18:19]
	v_add_f64 v[135:136], v[135:136], v[182:183]
	v_add_f64 v[153:154], v[153:154], v[157:158]
	v_fma_f64 v[157:158], v[74:75], s[34:35], v[68:69]
	v_add_f64 v[52:53], v[70:71], v[52:53]
	v_fma_f64 v[70:71], v[78:79], s[30:31], v[159:160]
	v_add_f64 v[44:45], v[44:45], v[167:168]
	v_mul_f64 v[167:168], v[78:79], s[26:27]
	v_add_f64 v[40:41], v[42:43], v[40:41]
	v_mul_f64 v[42:43], v[137:138], s[26:27]
	;; [unrolled: 2-line block ×3, first 2 shown]
	v_add_f64 v[139:140], v[139:140], v[155:156]
	v_add_f64 v[22:23], v[116:117], v[22:23]
	v_add_f64 v[86:87], v[165:166], -v[86:87]
	v_add_f64 v[171:172], v[171:172], v[177:178]
	v_fma_f64 v[177:178], v[108:109], s[20:21], v[145:146]
	v_fma_f64 v[108:109], v[108:109], s[42:43], v[145:146]
	v_add_f64 v[32:33], v[32:33], v[58:59]
	v_add_f64 v[20:21], v[92:93], v[20:21]
	v_fma_f64 v[184:185], v[72:73], s[28:29], v[214:215]
	v_add_f64 v[48:49], v[50:51], v[48:49]
	v_mul_f64 v[50:51], v[78:79], s[18:19]
	v_add_f64 v[54:55], v[54:55], -v[128:129]
	v_add_f64 v[34:35], v[34:35], v[46:47]
	v_fma_f64 v[186:187], v[120:121], s[10:11], -v[216:217]
	v_fma_f64 v[58:59], v[120:121], s[26:27], v[133:134]
	v_fma_f64 v[120:121], v[120:121], s[26:27], -v[133:134]
	v_mul_f64 v[88:89], v[88:89], s[38:39]
	v_add_f64 v[60:61], v[60:61], v[64:65]
	v_add_f64 v[56:57], v[56:57], v[173:174]
	;; [unrolled: 1-line block ×3, first 2 shown]
	v_mul_f64 v[147:148], v[141:142], s[30:31]
	v_add_f64 v[62:63], v[122:123], v[62:63]
	v_add_f64 v[135:136], v[135:136], v[139:140]
	;; [unrolled: 1-line block ×5, first 2 shown]
	v_mul_f64 v[157:158], v[80:81], s[18:19]
	v_add_f64 v[70:71], v[70:71], v[161:162]
	v_mul_f64 v[161:162], v[141:142], s[18:19]
	v_add_f64 v[32:33], v[108:109], v[32:33]
	v_mul_f64 v[141:142], v[141:142], s[8:9]
	v_fma_f64 v[122:123], v[72:73], s[38:39], v[137:138]
	v_add_f64 v[42:43], v[94:95], v[42:43]
	v_add_f64 v[22:23], v[112:113], v[22:23]
	v_add_f64 v[90:91], v[167:168], -v[90:91]
	v_add_f64 v[20:21], v[86:87], v[20:21]
	v_add_f64 v[38:39], v[184:185], v[38:39]
	v_mul_f64 v[184:185], v[80:81], s[30:31]
	v_add_f64 v[50:51], v[50:51], -v[104:105]
	v_add_f64 v[28:29], v[54:55], v[34:35]
	v_mul_f64 v[128:129], v[96:97], s[40:41]
	v_mul_f64 v[96:97], v[96:97], s[6:7]
	v_fma_f64 v[139:140], v[78:79], s[10:11], -v[88:89]
	v_add_f64 v[30:31], v[120:121], v[60:61]
	v_fma_f64 v[159:160], v[78:79], s[30:31], -v[159:160]
	v_add_f64 v[34:35], v[186:187], v[56:57]
	v_fma_f64 v[68:69], v[74:75], s[40:41], v[68:69]
	v_fma_f64 v[60:61], v[72:73], s[4:5], v[137:138]
	v_add_f64 v[72:73], v[177:178], v[171:172]
	v_fma_f64 v[78:79], v[78:79], s[10:11], v[88:89]
	v_add_f64 v[58:59], v[58:59], v[66:67]
	v_add_f64 v[94:95], v[124:125], v[147:148]
	;; [unrolled: 1-line block ×5, first 2 shown]
	v_mul_f64 v[173:174], v[82:83], s[24:25]
	v_mul_f64 v[145:146], v[106:107], s[36:37]
	;; [unrolled: 1-line block ×7, first 2 shown]
	v_fma_f64 v[86:87], v[74:75], s[6:7], v[141:142]
	v_add_f64 v[32:33], v[122:123], v[32:33]
	v_add_f64 v[106:107], v[110:111], v[161:162]
	;; [unrolled: 1-line block ×3, first 2 shown]
	v_add_f64 v[42:43], v[157:158], -v[100:101]
	v_add_f64 v[20:21], v[90:91], v[20:21]
	v_mul_f64 v[130:131], v[143:144], s[30:31]
	v_mul_f64 v[155:156], v[82:83], s[10:11]
	;; [unrolled: 1-line block ×3, first 2 shown]
	v_add_f64 v[104:105], v[184:185], -v[118:119]
	v_add_f64 v[24:25], v[50:51], v[28:29]
	v_mul_f64 v[182:183], v[143:144], s[8:9]
	v_mul_f64 v[56:57], v[143:144], s[18:19]
	v_fma_f64 v[88:89], v[80:81], s[8:9], -v[96:97]
	v_add_f64 v[26:27], v[139:140], v[30:31]
	v_fma_f64 v[54:55], v[80:81], s[24:25], -v[128:129]
	v_add_f64 v[28:29], v[159:160], v[34:35]
	v_fma_f64 v[108:109], v[80:81], s[24:25], v[128:129]
	v_add_f64 v[34:35], v[68:69], v[38:39]
	v_fma_f64 v[38:39], v[74:75], s[44:45], v[141:142]
	;; [unrolled: 2-line block ×3, first 2 shown]
	v_add_f64 v[58:59], v[78:79], v[58:59]
	v_add_f64 v[62:63], v[94:95], v[62:63]
	;; [unrolled: 1-line block ×4, first 2 shown]
	v_fma_f64 v[165:166], v[76:77], s[42:43], v[163:164]
	v_fma_f64 v[163:164], v[76:77], s[20:21], v[163:164]
	v_add_f64 v[32:33], v[86:87], v[32:33]
	v_add_f64 v[80:81], v[102:103], v[84:85]
	;; [unrolled: 1-line block ×3, first 2 shown]
	v_add_f64 v[86:87], v[173:174], -v[98:99]
	v_add_f64 v[20:21], v[42:43], v[20:21]
	v_fma_f64 v[175:176], v[76:77], s[28:29], v[130:131]
	v_add_f64 v[46:47], v[126:127], v[46:47]
	v_add_f64 v[78:79], v[155:156], -v[114:115]
	v_add_f64 v[24:25], v[104:105], v[24:25]
	v_fma_f64 v[30:31], v[76:77], s[44:45], v[182:183]
	v_fma_f64 v[72:73], v[76:77], s[22:23], v[56:57]
	v_fma_f64 v[74:75], v[82:83], s[18:19], -v[66:67]
	v_add_f64 v[88:89], v[88:89], v[26:27]
	v_fma_f64 v[68:69], v[82:83], s[8:9], -v[188:189]
	v_add_f64 v[28:29], v[54:55], v[28:29]
	v_fma_f64 v[92:93], v[82:83], s[26:27], v[133:134]
	v_fma_f64 v[133:134], v[82:83], s[26:27], -v[133:134]
	v_fma_f64 v[116:117], v[82:83], s[30:31], v[145:146]
	v_fma_f64 v[130:131], v[76:77], s[36:37], v[130:131]
	v_fma_f64 v[145:146], v[82:83], s[30:31], -v[145:146]
	v_fma_f64 v[64:65], v[76:77], s[6:7], v[182:183]
	v_fma_f64 v[54:55], v[82:83], s[8:9], v[188:189]
	v_add_f64 v[70:71], v[108:109], v[70:71]
	v_fma_f64 v[56:57], v[76:77], s[16:17], v[56:57]
	v_add_f64 v[50:51], v[38:39], v[50:51]
	;; [unrolled: 2-line block ×3, first 2 shown]
	v_add_f64 v[10:11], v[90:91], v[10:11]
	v_add_f64 v[8:9], v[94:95], v[8:9]
	;; [unrolled: 1-line block ×22, first 2 shown]
	v_mov_b32_e32 v52, 4
	v_lshlrev_b32_sdwa v52, v52, v181 dst_sel:DWORD dst_unused:UNUSED_PAD src0_sel:DWORD src1_sel:WORD_0
	ds_write_b128 v52, v[8:11]
	ds_write_b128 v52, v[40:43] offset:16
	ds_write_b128 v52, v[36:39] offset:32
	;; [unrolled: 1-line block ×12, first 2 shown]
.LBB0_7:
	s_or_b32 exec_lo, exec_lo, s33
	v_and_b32_e32 v8, 0xff, v180
	s_load_dwordx4 s[4:7], s[2:3], 0x0
	s_waitcnt lgkmcnt(0)
	s_barrier
	buffer_gl0_inv
	v_mul_lo_u16 v8, 0x4f, v8
	s_mov_b32 s24, 0xf8bb580b
	s_mov_b32 s28, 0x8eee2c13
	;; [unrolled: 1-line block ×4, first 2 shown]
	v_lshrrev_b16 v145, 10, v8
	s_mov_b32 s26, 0xfd768dbf
	s_mov_b32 s25, 0xbfe14ced
	;; [unrolled: 1-line block ×4, first 2 shown]
	v_mul_lo_u16 v8, v145, 13
	s_mov_b32 s21, 0xbfe82f19
	s_mov_b32 s27, 0xbfd207e7
	;; [unrolled: 1-line block ×4, first 2 shown]
	v_sub_nc_u16 v8, v180, v8
	s_mov_b32 s2, 0x640f44db
	s_mov_b32 s16, 0x7f775887
	;; [unrolled: 1-line block ×4, first 2 shown]
	v_and_b32_e32 v146, 0xff, v8
	s_mov_b32 s9, 0x3fda9628
	s_mov_b32 s3, 0xbfc2375f
	;; [unrolled: 1-line block ×4, first 2 shown]
	v_mul_u32_u24_e32 v8, 10, v146
	s_mov_b32 s39, 0x3fd207e7
	s_mov_b32 s38, s26
	;; [unrolled: 1-line block ×4, first 2 shown]
	v_lshlrev_b32_e32 v84, 4, v8
	s_mov_b32 s31, 0x3fe14ced
	s_mov_b32 s30, s24
	;; [unrolled: 1-line block ×4, first 2 shown]
	s_clause 0x5
	global_load_dwordx4 v[28:31], v84, s[0:1]
	global_load_dwordx4 v[24:27], v84, s[0:1] offset:16
	global_load_dwordx4 v[12:15], v84, s[0:1] offset:32
	;; [unrolled: 1-line block ×5, first 2 shown]
	ds_read_b128 v[32:35], v179 offset:2288
	ds_read_b128 v[36:39], v179 offset:4576
	;; [unrolled: 1-line block ×3, first 2 shown]
	ds_read_b128 v[96:99], v179
	s_waitcnt vmcnt(5) lgkmcnt(3)
	v_mul_f64 v[44:45], v[34:35], v[30:31]
	v_mul_f64 v[46:47], v[32:33], v[30:31]
	s_waitcnt vmcnt(4) lgkmcnt(2)
	v_mul_f64 v[48:49], v[38:39], v[26:27]
	v_mul_f64 v[50:51], v[36:37], v[26:27]
	;; [unrolled: 3-line block ×3, first 2 shown]
	v_fma_f64 v[92:93], v[32:33], v[28:29], -v[44:45]
	v_fma_f64 v[94:95], v[34:35], v[28:29], v[46:47]
	ds_read_b128 v[32:35], v179 offset:9152
	v_fma_f64 v[56:57], v[36:37], v[24:25], -v[48:49]
	v_fma_f64 v[58:59], v[38:39], v[24:25], v[50:51]
	ds_read_b128 v[36:39], v179 offset:11440
	v_fma_f64 v[60:61], v[40:41], v[12:13], -v[52:53]
	v_fma_f64 v[62:63], v[42:43], v[12:13], v[54:55]
	s_waitcnt vmcnt(2) lgkmcnt(1)
	v_mul_f64 v[44:45], v[34:35], v[10:11]
	v_mul_f64 v[40:41], v[32:33], v[10:11]
	s_waitcnt vmcnt(1) lgkmcnt(0)
	v_mul_f64 v[42:43], v[38:39], v[22:23]
	v_fma_f64 v[64:65], v[32:33], v[8:9], -v[44:45]
	v_mul_f64 v[32:33], v[36:37], v[22:23]
	v_fma_f64 v[66:67], v[34:35], v[8:9], v[40:41]
	v_fma_f64 v[68:69], v[36:37], v[20:21], -v[42:43]
	v_fma_f64 v[70:71], v[38:39], v[20:21], v[32:33]
	ds_read_b128 v[32:35], v179 offset:13728
	ds_read_b128 v[40:43], v179 offset:16016
	s_waitcnt vmcnt(0) lgkmcnt(1)
	v_mul_f64 v[36:37], v[34:35], v[18:19]
	v_fma_f64 v[72:73], v[32:33], v[16:17], -v[36:37]
	v_mul_f64 v[32:33], v[32:33], v[18:19]
	v_add_f64 v[175:176], v[68:69], -v[72:73]
	v_fma_f64 v[74:75], v[34:35], v[16:17], v[32:33]
	s_clause 0x1
	global_load_dwordx4 v[32:35], v84, s[0:1] offset:96
	global_load_dwordx4 v[36:39], v84, s[0:1] offset:112
	v_add_f64 v[171:172], v[68:69], v[72:73]
	v_mul_f64 v[182:183], v[175:176], s[26:27]
	v_add_f64 v[169:170], v[70:71], -v[74:75]
	v_add_f64 v[177:178], v[70:71], v[74:75]
	v_mul_f64 v[173:174], v[169:170], s[26:27]
	s_waitcnt vmcnt(1) lgkmcnt(0)
	v_mul_f64 v[44:45], v[42:43], v[34:35]
	v_fma_f64 v[76:77], v[40:41], v[32:33], -v[44:45]
	v_mul_f64 v[40:41], v[40:41], v[34:35]
	v_add_f64 v[157:158], v[64:65], v[76:77]
	v_fma_f64 v[78:79], v[42:43], v[32:33], v[40:41]
	ds_read_b128 v[40:43], v179 offset:18304
	ds_read_b128 v[48:51], v179 offset:20592
	s_waitcnt vmcnt(0) lgkmcnt(1)
	v_mul_f64 v[44:45], v[42:43], v[38:39]
	v_add_f64 v[163:164], v[66:67], v[78:79]
	v_fma_f64 v[80:81], v[40:41], v[36:37], -v[44:45]
	v_mul_f64 v[40:41], v[40:41], v[38:39]
	v_fma_f64 v[82:83], v[42:43], v[36:37], v[40:41]
	s_clause 0x1
	global_load_dwordx4 v[40:43], v84, s[0:1] offset:128
	global_load_dwordx4 v[44:47], v84, s[0:1] offset:144
	s_waitcnt vmcnt(1) lgkmcnt(0)
	v_mul_f64 v[52:53], v[50:51], v[42:43]
	v_fma_f64 v[84:85], v[48:49], v[40:41], -v[52:53]
	v_mul_f64 v[48:49], v[48:49], v[42:43]
	v_fma_f64 v[86:87], v[50:51], v[40:41], v[48:49]
	ds_read_b128 v[48:51], v179 offset:22880
	s_waitcnt vmcnt(0) lgkmcnt(0)
	s_barrier
	buffer_gl0_inv
	v_mul_f64 v[52:53], v[48:49], v[46:47]
	v_fma_f64 v[88:89], v[50:51], v[44:45], v[52:53]
	v_mul_f64 v[50:51], v[50:51], v[46:47]
	v_add_f64 v[120:121], v[94:95], v[88:89]
	v_fma_f64 v[90:91], v[48:49], v[44:45], -v[50:51]
	v_add_f64 v[48:49], v[94:95], -v[88:89]
	v_add_f64 v[94:95], v[98:99], v[94:95]
	v_add_f64 v[102:103], v[92:93], v[90:91]
	v_mul_f64 v[50:51], v[48:49], s[24:25]
	v_mul_f64 v[52:53], v[48:49], s[28:29]
	;; [unrolled: 1-line block ×5, first 2 shown]
	v_fma_f64 v[104:105], v[102:103], s[10:11], -v[50:51]
	v_fma_f64 v[50:51], v[102:103], s[10:11], v[50:51]
	v_fma_f64 v[106:107], v[102:103], s[8:9], -v[52:53]
	v_fma_f64 v[52:53], v[102:103], s[8:9], v[52:53]
	;; [unrolled: 2-line block ×5, first 2 shown]
	v_add_f64 v[48:49], v[92:93], -v[90:91]
	v_add_f64 v[92:93], v[96:97], v[92:93]
	v_add_f64 v[147:148], v[96:97], v[104:105]
	;; [unrolled: 1-line block ×5, first 2 shown]
	v_add_f64 v[108:109], v[58:59], -v[86:87]
	v_add_f64 v[106:107], v[96:97], v[124:125]
	v_mul_f64 v[54:55], v[48:49], s[24:25]
	v_mul_f64 v[114:115], v[48:49], s[28:29]
	;; [unrolled: 1-line block ×5, first 2 shown]
	v_fma_f64 v[122:123], v[120:121], s[10:11], v[54:55]
	v_fma_f64 v[54:55], v[120:121], s[10:11], -v[54:55]
	v_fma_f64 v[126:127], v[120:121], s[8:9], v[114:115]
	v_fma_f64 v[114:115], v[120:121], s[8:9], -v[114:115]
	;; [unrolled: 2-line block ×5, first 2 shown]
	v_add_f64 v[118:119], v[96:97], v[112:113]
	v_add_f64 v[149:150], v[98:99], v[122:123]
	;; [unrolled: 1-line block ×8, first 2 shown]
	v_mul_f64 v[141:142], v[108:109], s[28:29]
	v_add_f64 v[122:123], v[96:97], v[110:111]
	v_add_f64 v[96:97], v[96:97], v[102:103]
	v_add_f64 v[110:111], v[56:57], -v[84:85]
	v_add_f64 v[137:138], v[98:99], v[126:127]
	v_add_f64 v[128:129], v[98:99], v[128:129]
	;; [unrolled: 1-line block ×6, first 2 shown]
	v_add_f64 v[133:134], v[62:63], -v[82:83]
	v_add_f64 v[56:57], v[92:93], v[56:57]
	v_fma_f64 v[102:103], v[100:101], s[8:9], -v[141:142]
	v_fma_f64 v[141:142], v[100:101], s[8:9], v[141:142]
	v_mul_f64 v[143:144], v[110:111], s[28:29]
	v_mul_f64 v[151:152], v[133:134], s[18:19]
	v_add_f64 v[56:57], v[56:57], v[60:61]
	v_add_f64 v[126:127], v[102:103], v[147:148]
	;; [unrolled: 1-line block ×6, first 2 shown]
	v_fma_f64 v[124:125], v[102:103], s[8:9], v[143:144]
	v_fma_f64 v[141:142], v[102:103], s[8:9], -v[143:144]
	v_fma_f64 v[143:144], v[177:178], s[22:23], -v[182:183]
	v_add_f64 v[58:59], v[58:59], v[62:63]
	v_add_f64 v[56:57], v[56:57], v[68:69]
	;; [unrolled: 1-line block ×7, first 2 shown]
	v_fma_f64 v[135:136], v[124:125], s[2:3], -v[151:152]
	v_fma_f64 v[141:142], v[124:125], s[2:3], v[151:152]
	v_add_f64 v[58:59], v[58:59], v[70:71]
	v_add_f64 v[56:57], v[56:57], v[76:77]
	;; [unrolled: 1-line block ×3, first 2 shown]
	v_add_f64 v[135:136], v[60:61], -v[80:81]
	v_add_f64 v[126:127], v[62:63], v[82:83]
	v_add_f64 v[50:51], v[141:142], v[50:51]
	;; [unrolled: 1-line block ×3, first 2 shown]
	v_mad_u64_u32 v[60:61], null, 0xa0, v180, s[0:1]
	v_add_f64 v[56:57], v[56:57], v[80:81]
	v_mul_f64 v[153:154], v[135:136], s[18:19]
	v_add_f64 v[58:59], v[58:59], v[78:79]
	v_add_f64 v[56:57], v[56:57], v[84:85]
	v_fma_f64 v[155:156], v[126:127], s[2:3], v[153:154]
	v_fma_f64 v[141:142], v[126:127], s[2:3], -v[153:154]
	v_add_f64 v[58:59], v[58:59], v[82:83]
	v_add_f64 v[56:57], v[56:57], v[90:91]
	v_add_f64 v[147:148], v[155:156], v[147:148]
	v_add_f64 v[155:156], v[66:67], -v[78:79]
	v_add_f64 v[48:49], v[141:142], v[48:49]
	v_add_f64 v[58:59], v[58:59], v[86:87]
	v_add_co_u32 v66, s0, 0x800, v60
	v_add_co_ci_u32_e64 v67, s0, 0, v61, s0
	v_add_co_u32 v62, s0, 0x820, v60
	v_add_co_ci_u32_e64 v63, s0, 0, v61, s0
	v_mul_f64 v[159:160], v[155:156], s[20:21]
	v_add_f64 v[58:59], v[58:59], v[88:89]
	v_fma_f64 v[161:162], v[157:158], s[16:17], -v[159:160]
	v_fma_f64 v[141:142], v[157:158], s[16:17], v[159:160]
	v_add_f64 v[149:150], v[161:162], v[149:150]
	v_add_f64 v[161:162], v[64:65], -v[76:77]
	v_add_f64 v[50:51], v[141:142], v[50:51]
	v_mul_f64 v[165:166], v[161:162], s[20:21]
	v_fma_f64 v[141:142], v[163:164], s[16:17], -v[165:166]
	v_fma_f64 v[167:168], v[163:164], s[16:17], v[165:166]
	v_add_f64 v[141:142], v[141:142], v[48:49]
	v_fma_f64 v[48:49], v[171:172], s[22:23], v[173:174]
	v_add_f64 v[167:168], v[167:168], v[147:148]
	v_fma_f64 v[147:148], v[171:172], s[22:23], -v[173:174]
	v_mul_f64 v[173:174], v[169:170], s[30:31]
	v_add_f64 v[48:49], v[48:49], v[50:51]
	v_add_f64 v[50:51], v[143:144], v[141:142]
	v_mul_f64 v[141:142], v[108:109], s[20:21]
	v_add_f64 v[147:148], v[147:148], v[149:150]
	v_fma_f64 v[149:150], v[177:178], s[22:23], v[182:183]
	v_mul_f64 v[182:183], v[175:176], s[30:31]
	v_fma_f64 v[143:144], v[100:101], s[16:17], -v[141:142]
	v_fma_f64 v[141:142], v[100:101], s[16:17], v[141:142]
	v_add_f64 v[149:150], v[149:150], v[167:168]
	v_add_f64 v[139:140], v[143:144], v[139:140]
	v_mul_f64 v[143:144], v[110:111], s[20:21]
	v_add_f64 v[54:55], v[141:142], v[54:55]
	v_fma_f64 v[151:152], v[102:103], s[16:17], v[143:144]
	v_fma_f64 v[141:142], v[102:103], s[16:17], -v[143:144]
	v_fma_f64 v[143:144], v[177:178], s[10:11], -v[182:183]
	v_add_f64 v[137:138], v[151:152], v[137:138]
	v_mul_f64 v[151:152], v[133:134], s[38:39]
	v_add_f64 v[52:53], v[141:142], v[52:53]
	v_fma_f64 v[153:154], v[124:125], s[22:23], -v[151:152]
	v_fma_f64 v[141:142], v[124:125], s[22:23], v[151:152]
	v_add_f64 v[139:140], v[153:154], v[139:140]
	v_mul_f64 v[153:154], v[135:136], s[38:39]
	v_add_f64 v[54:55], v[141:142], v[54:55]
	v_fma_f64 v[159:160], v[126:127], s[22:23], v[153:154]
	v_fma_f64 v[141:142], v[126:127], s[22:23], -v[153:154]
	v_add_f64 v[137:138], v[159:160], v[137:138]
	v_mul_f64 v[159:160], v[155:156], s[36:37]
	v_add_f64 v[52:53], v[141:142], v[52:53]
	v_fma_f64 v[165:166], v[157:158], s[2:3], -v[159:160]
	v_fma_f64 v[141:142], v[157:158], s[2:3], v[159:160]
	v_add_f64 v[139:140], v[165:166], v[139:140]
	v_mul_f64 v[165:166], v[161:162], s[36:37]
	v_add_f64 v[54:55], v[141:142], v[54:55]
	v_fma_f64 v[141:142], v[163:164], s[2:3], -v[165:166]
	v_fma_f64 v[167:168], v[163:164], s[2:3], v[165:166]
	v_add_f64 v[141:142], v[141:142], v[52:53]
	v_fma_f64 v[52:53], v[171:172], s[10:11], v[173:174]
	v_add_f64 v[167:168], v[167:168], v[137:138]
	v_fma_f64 v[137:138], v[171:172], s[10:11], -v[173:174]
	v_mul_f64 v[173:174], v[169:170], s[20:21]
	v_add_f64 v[52:53], v[52:53], v[54:55]
	v_add_f64 v[54:55], v[143:144], v[141:142]
	v_mul_f64 v[141:142], v[108:109], s[38:39]
	v_add_f64 v[137:138], v[137:138], v[139:140]
	v_fma_f64 v[139:140], v[177:178], s[10:11], v[182:183]
	v_mul_f64 v[182:183], v[175:176], s[20:21]
	v_fma_f64 v[143:144], v[100:101], s[22:23], -v[141:142]
	v_fma_f64 v[141:142], v[100:101], s[22:23], v[141:142]
	v_add_f64 v[139:140], v[139:140], v[167:168]
	v_add_f64 v[130:131], v[143:144], v[130:131]
	v_mul_f64 v[143:144], v[110:111], s[38:39]
	v_add_f64 v[122:123], v[141:142], v[122:123]
	v_fma_f64 v[151:152], v[102:103], s[22:23], v[143:144]
	v_fma_f64 v[141:142], v[102:103], s[22:23], -v[143:144]
	v_fma_f64 v[143:144], v[177:178], s[16:17], -v[182:183]
	v_add_f64 v[128:129], v[151:152], v[128:129]
	v_mul_f64 v[151:152], v[133:134], s[34:35]
	v_add_f64 v[120:121], v[141:142], v[120:121]
	v_fma_f64 v[153:154], v[124:125], s[8:9], -v[151:152]
	v_fma_f64 v[141:142], v[124:125], s[8:9], v[151:152]
	v_add_f64 v[130:131], v[153:154], v[130:131]
	v_mul_f64 v[153:154], v[135:136], s[34:35]
	v_add_f64 v[122:123], v[141:142], v[122:123]
	v_fma_f64 v[159:160], v[126:127], s[8:9], v[153:154]
	v_fma_f64 v[141:142], v[126:127], s[8:9], -v[153:154]
	v_add_f64 v[128:129], v[159:160], v[128:129]
	v_mul_f64 v[159:160], v[155:156], s[24:25]
	v_add_f64 v[120:121], v[141:142], v[120:121]
	v_fma_f64 v[165:166], v[157:158], s[10:11], -v[159:160]
	v_fma_f64 v[141:142], v[157:158], s[10:11], v[159:160]
	v_add_f64 v[130:131], v[165:166], v[130:131]
	v_mul_f64 v[165:166], v[161:162], s[24:25]
	v_add_f64 v[122:123], v[141:142], v[122:123]
	v_fma_f64 v[141:142], v[163:164], s[10:11], -v[165:166]
	v_fma_f64 v[167:168], v[163:164], s[10:11], v[165:166]
	v_add_f64 v[141:142], v[141:142], v[120:121]
	v_fma_f64 v[120:121], v[171:172], s[16:17], v[173:174]
	v_add_f64 v[167:168], v[167:168], v[128:129]
	v_fma_f64 v[128:129], v[171:172], s[16:17], -v[173:174]
	v_mul_f64 v[173:174], v[169:170], s[34:35]
	v_add_f64 v[120:121], v[120:121], v[122:123]
	v_add_f64 v[122:123], v[143:144], v[141:142]
	v_mul_f64 v[141:142], v[108:109], s[36:37]
	v_add_f64 v[128:129], v[128:129], v[130:131]
	v_fma_f64 v[130:131], v[177:178], s[16:17], v[182:183]
	v_mul_f64 v[182:183], v[175:176], s[34:35]
	v_mul_f64 v[108:109], v[108:109], s[30:31]
	v_fma_f64 v[143:144], v[100:101], s[2:3], -v[141:142]
	v_fma_f64 v[141:142], v[100:101], s[2:3], v[141:142]
	v_add_f64 v[130:131], v[130:131], v[167:168]
	v_add_f64 v[118:119], v[143:144], v[118:119]
	v_mul_f64 v[143:144], v[110:111], s[36:37]
	v_add_f64 v[114:115], v[141:142], v[114:115]
	v_mul_f64 v[110:111], v[110:111], s[30:31]
	v_fma_f64 v[151:152], v[102:103], s[2:3], v[143:144]
	v_fma_f64 v[141:142], v[102:103], s[2:3], -v[143:144]
	v_fma_f64 v[143:144], v[177:178], s[8:9], -v[182:183]
	v_add_f64 v[116:117], v[151:152], v[116:117]
	v_mul_f64 v[151:152], v[133:134], s[24:25]
	v_add_f64 v[112:113], v[141:142], v[112:113]
	v_mul_f64 v[133:134], v[133:134], s[20:21]
	v_fma_f64 v[153:154], v[124:125], s[10:11], -v[151:152]
	v_fma_f64 v[141:142], v[124:125], s[10:11], v[151:152]
	v_add_f64 v[118:119], v[153:154], v[118:119]
	v_mul_f64 v[153:154], v[135:136], s[24:25]
	v_add_f64 v[114:115], v[141:142], v[114:115]
	v_mul_f64 v[135:136], v[135:136], s[20:21]
	v_fma_f64 v[159:160], v[126:127], s[10:11], v[153:154]
	v_fma_f64 v[141:142], v[126:127], s[10:11], -v[153:154]
	v_mul_f64 v[153:154], v[169:170], s[18:19]
	v_add_f64 v[116:117], v[159:160], v[116:117]
	v_mul_f64 v[159:160], v[155:156], s[26:27]
	v_add_f64 v[112:113], v[141:142], v[112:113]
	v_fma_f64 v[165:166], v[157:158], s[22:23], -v[159:160]
	v_fma_f64 v[141:142], v[157:158], s[22:23], v[159:160]
	v_add_f64 v[118:119], v[165:166], v[118:119]
	v_mul_f64 v[165:166], v[161:162], s[26:27]
	v_add_f64 v[114:115], v[141:142], v[114:115]
	v_fma_f64 v[141:142], v[163:164], s[22:23], -v[165:166]
	v_fma_f64 v[167:168], v[163:164], s[22:23], v[165:166]
	v_add_f64 v[141:142], v[141:142], v[112:113]
	v_fma_f64 v[112:113], v[171:172], s[8:9], v[173:174]
	v_add_f64 v[167:168], v[167:168], v[116:117]
	v_fma_f64 v[116:117], v[171:172], s[8:9], -v[173:174]
	v_add_f64 v[112:113], v[112:113], v[114:115]
	v_add_f64 v[114:115], v[143:144], v[141:142]
	v_fma_f64 v[141:142], v[100:101], s[10:11], -v[108:109]
	v_fma_f64 v[100:101], v[100:101], s[10:11], v[108:109]
	v_fma_f64 v[108:109], v[124:125], s[16:17], v[133:134]
	v_add_f64 v[116:117], v[116:117], v[118:119]
	v_fma_f64 v[118:119], v[177:178], s[8:9], v[182:183]
	v_add_f64 v[106:107], v[141:142], v[106:107]
	v_fma_f64 v[141:142], v[102:103], s[10:11], v[110:111]
	v_fma_f64 v[102:103], v[102:103], s[10:11], -v[110:111]
	v_fma_f64 v[110:111], v[126:127], s[16:17], -v[135:136]
	v_add_f64 v[96:97], v[100:101], v[96:97]
	v_add_f64 v[118:119], v[118:119], v[167:168]
	;; [unrolled: 1-line block ×3, first 2 shown]
	v_fma_f64 v[141:142], v[124:125], s[16:17], -v[133:134]
	v_add_f64 v[98:99], v[102:103], v[98:99]
	v_add_f64 v[96:97], v[108:109], v[96:97]
	v_fma_f64 v[108:109], v[171:172], s[2:3], v[153:154]
	v_add_f64 v[106:107], v[141:142], v[106:107]
	v_fma_f64 v[141:142], v[126:127], s[16:17], v[135:136]
	v_add_f64 v[98:99], v[110:111], v[98:99]
	v_add_f64 v[104:105], v[141:142], v[104:105]
	v_mul_f64 v[141:142], v[155:156], s[34:35]
	v_mul_f64 v[155:156], v[175:176], s[18:19]
	v_fma_f64 v[143:144], v[157:158], s[8:9], -v[141:142]
	v_fma_f64 v[100:101], v[157:158], s[8:9], v[141:142]
	v_fma_f64 v[110:111], v[177:178], s[2:3], -v[155:156]
	v_add_f64 v[106:107], v[143:144], v[106:107]
	v_mul_f64 v[143:144], v[161:162], s[34:35]
	v_add_f64 v[96:97], v[100:101], v[96:97]
	v_mov_b32_e32 v100, 0x8f
	v_mul_u32_u24_sdwa v100, v145, v100 dst_sel:DWORD dst_unused:UNUSED_PAD src0_sel:WORD_0 src1_sel:DWORD
	v_add_lshl_u32 v182, v100, v146, 4
	ds_write_b128 v182, v[147:150] offset:208
	v_fma_f64 v[151:152], v[163:164], s[8:9], v[143:144]
	v_fma_f64 v[102:103], v[163:164], s[8:9], -v[143:144]
	v_add_f64 v[96:97], v[108:109], v[96:97]
	v_add_f64 v[151:152], v[151:152], v[104:105]
	v_fma_f64 v[104:105], v[171:172], s[2:3], -v[153:154]
	v_add_f64 v[98:99], v[102:103], v[98:99]
	v_add_f64 v[104:105], v[104:105], v[106:107]
	v_fma_f64 v[106:107], v[177:178], s[2:3], v[155:156]
	v_add_f64 v[98:99], v[110:111], v[98:99]
	v_add_f64 v[106:107], v[106:107], v[151:152]
	ds_write_b128 v182, v[137:140] offset:416
	ds_write_b128 v182, v[128:131] offset:624
	;; [unrolled: 1-line block ×9, first 2 shown]
	ds_write_b128 v182, v[56:59]
	s_waitcnt lgkmcnt(0)
	s_barrier
	buffer_gl0_inv
	s_clause 0x1
	global_load_dwordx4 v[52:55], v[66:67], off offset:32
	global_load_dwordx4 v[48:51], v[62:63], off offset:48
	ds_read_b128 v[56:59], v179 offset:2288
	ds_read_b128 v[88:91], v179
	s_clause 0x1
	global_load_dwordx4 v[84:87], v[62:63], off offset:16
	global_load_dwordx4 v[76:79], v[62:63], off offset:32
	s_waitcnt vmcnt(3) lgkmcnt(1)
	v_mul_f64 v[64:65], v[58:59], v[54:55]
	v_fma_f64 v[100:101], v[56:57], v[52:53], -v[64:65]
	v_mul_f64 v[56:57], v[56:57], v[54:55]
	s_waitcnt lgkmcnt(0)
	v_add_f64 v[165:166], v[88:89], v[100:101]
	v_fma_f64 v[102:103], v[58:59], v[52:53], v[56:57]
	ds_read_b128 v[56:59], v179 offset:4576
	ds_read_b128 v[62:65], v179 offset:6864
	s_waitcnt vmcnt(1) lgkmcnt(1)
	v_mul_f64 v[68:69], v[58:59], v[86:87]
	v_add_f64 v[167:168], v[90:91], v[102:103]
	v_fma_f64 v[108:109], v[56:57], v[84:85], -v[68:69]
	v_mul_f64 v[56:57], v[56:57], v[86:87]
	v_fma_f64 v[110:111], v[58:59], v[84:85], v[56:57]
	s_waitcnt vmcnt(0) lgkmcnt(0)
	v_mul_f64 v[56:57], v[64:65], v[78:79]
	v_fma_f64 v[133:134], v[62:63], v[76:77], -v[56:57]
	v_mul_f64 v[56:57], v[62:63], v[78:79]
	v_fma_f64 v[135:136], v[64:65], v[76:77], v[56:57]
	ds_read_b128 v[56:59], v179 offset:9152
	ds_read_b128 v[68:71], v179 offset:11440
	s_clause 0x1
	global_load_dwordx4 v[72:75], v[66:67], off offset:96
	global_load_dwordx4 v[64:67], v[66:67], off offset:160
	s_waitcnt lgkmcnt(1)
	v_mul_f64 v[62:63], v[58:59], v[50:51]
	v_fma_f64 v[137:138], v[56:57], v[48:49], -v[62:63]
	v_mul_f64 v[56:57], v[56:57], v[50:51]
	v_add_co_u32 v62, s0, 0x860, v60
	v_add_co_ci_u32_e64 v63, s0, 0, v61, s0
	v_fma_f64 v[139:140], v[58:59], v[48:49], v[56:57]
	s_waitcnt vmcnt(1) lgkmcnt(0)
	v_mul_f64 v[56:57], v[70:71], v[74:75]
	v_fma_f64 v[141:142], v[68:69], v[72:73], -v[56:57]
	v_mul_f64 v[56:57], v[68:69], v[74:75]
	v_fma_f64 v[143:144], v[70:71], v[72:73], v[56:57]
	s_clause 0x1
	global_load_dwordx4 v[68:71], v[62:63], off offset:16
	global_load_dwordx4 v[56:59], v[62:63], off offset:32
	ds_read_b128 v[80:83], v179 offset:13728
	ds_read_b128 v[92:95], v179 offset:16016
	s_waitcnt vmcnt(1) lgkmcnt(1)
	v_mul_f64 v[96:97], v[82:83], v[70:71]
	v_fma_f64 v[145:146], v[80:81], v[68:69], -v[96:97]
	v_mul_f64 v[80:81], v[80:81], v[70:71]
	v_add_f64 v[211:212], v[141:142], v[145:146]
	v_fma_f64 v[147:148], v[82:83], v[68:69], v[80:81]
	s_waitcnt vmcnt(0) lgkmcnt(0)
	v_mul_f64 v[80:81], v[94:95], v[58:59]
	v_add_f64 v[217:218], v[143:144], v[147:148]
	v_fma_f64 v[149:150], v[92:93], v[56:57], -v[80:81]
	v_mul_f64 v[80:81], v[92:93], v[58:59]
	v_add_f64 v[199:200], v[137:138], v[149:150]
	v_fma_f64 v[151:152], v[94:95], v[56:57], v[80:81]
	v_add_co_u32 v80, s0, 0x8a0, v60
	v_add_co_ci_u32_e64 v81, s0, 0, v61, s0
	s_clause 0x1
	global_load_dwordx4 v[60:63], v[62:63], off offset:48
	global_load_dwordx4 v[80:83], v[80:81], off offset:16
	ds_read_b128 v[92:95], v179 offset:18304
	ds_read_b128 v[96:99], v179 offset:20592
	v_add_f64 v[205:206], v[139:140], v[151:152]
	s_waitcnt vmcnt(1) lgkmcnt(1)
	v_mul_f64 v[104:105], v[94:95], v[62:63]
	v_fma_f64 v[153:154], v[92:93], v[60:61], -v[104:105]
	v_mul_f64 v[92:93], v[92:93], v[62:63]
	v_fma_f64 v[155:156], v[94:95], v[60:61], v[92:93]
	s_waitcnt lgkmcnt(0)
	v_mul_f64 v[92:93], v[98:99], v[66:67]
	v_add_f64 v[193:194], v[135:136], v[155:156]
	v_fma_f64 v[157:158], v[96:97], v[64:65], -v[92:93]
	v_mul_f64 v[92:93], v[96:97], v[66:67]
	v_fma_f64 v[159:160], v[98:99], v[64:65], v[92:93]
	ds_read_b128 v[92:95], v179 offset:22880
	s_waitcnt vmcnt(0) lgkmcnt(0)
	v_mul_f64 v[96:97], v[92:93], v[82:83]
	v_fma_f64 v[161:162], v[94:95], v[80:81], v[96:97]
	v_mul_f64 v[94:95], v[94:95], v[82:83]
	v_add_f64 v[130:131], v[102:103], v[161:162]
	v_fma_f64 v[163:164], v[92:93], v[80:81], -v[94:95]
	v_add_f64 v[92:93], v[102:103], -v[161:162]
	v_add_f64 v[106:107], v[100:101], v[163:164]
	v_mul_f64 v[94:95], v[92:93], s[24:25]
	v_mul_f64 v[96:97], v[92:93], s[28:29]
	;; [unrolled: 1-line block ×5, first 2 shown]
	v_fma_f64 v[112:113], v[106:107], s[10:11], -v[94:95]
	v_fma_f64 v[94:95], v[106:107], s[10:11], v[94:95]
	v_fma_f64 v[118:119], v[106:107], s[2:3], -v[98:99]
	v_fma_f64 v[120:121], v[106:107], s[2:3], v[98:99]
	;; [unrolled: 2-line block ×3, first 2 shown]
	v_add_f64 v[92:93], v[100:101], -v[163:164]
	v_fma_f64 v[114:115], v[106:107], s[8:9], -v[96:97]
	v_fma_f64 v[116:117], v[106:107], s[8:9], v[96:97]
	v_fma_f64 v[122:123], v[106:107], s[16:17], -v[104:105]
	v_fma_f64 v[124:125], v[106:107], s[16:17], v[104:105]
	v_add_f64 v[189:190], v[88:89], v[112:113]
	v_add_f64 v[102:103], v[88:89], v[118:119]
	;; [unrolled: 1-line block ×5, first 2 shown]
	v_mul_f64 v[98:99], v[92:93], s[28:29]
	v_mul_f64 v[96:97], v[92:93], s[24:25]
	;; [unrolled: 1-line block ×5, first 2 shown]
	v_fma_f64 v[173:174], v[130:131], s[8:9], -v[98:99]
	v_fma_f64 v[169:170], v[130:131], s[10:11], v[96:97]
	v_fma_f64 v[175:176], v[130:131], s[2:3], v[104:105]
	v_fma_f64 v[177:178], v[130:131], s[2:3], -v[104:105]
	v_fma_f64 v[183:184], v[130:131], s[16:17], v[106:107]
	v_fma_f64 v[171:172], v[130:131], s[8:9], v[98:99]
	v_fma_f64 v[185:186], v[130:131], s[16:17], -v[106:107]
	v_fma_f64 v[187:188], v[130:131], s[22:23], v[92:93]
	v_fma_f64 v[96:97], v[130:131], s[10:11], -v[96:97]
	v_fma_f64 v[130:131], v[130:131], s[22:23], -v[92:93]
	v_add_f64 v[98:99], v[88:89], v[94:95]
	v_add_f64 v[94:95], v[88:89], v[114:115]
	;; [unrolled: 1-line block ×6, first 2 shown]
	v_add_f64 v[173:174], v[110:111], -v[159:160]
	v_add_f64 v[191:192], v[90:91], v[169:170]
	v_add_f64 v[100:101], v[90:91], v[175:176]
	v_add_f64 v[112:113], v[90:91], v[183:184]
	v_add_f64 v[169:170], v[108:109], v[157:158]
	v_add_f64 v[175:176], v[108:109], -v[157:158]
	v_add_f64 v[92:93], v[90:91], v[171:172]
	v_add_f64 v[120:121], v[90:91], v[185:186]
	v_add_f64 v[124:125], v[90:91], v[187:188]
	v_add_f64 v[171:172], v[110:111], v[159:160]
	;; [unrolled: 5-line block ×3, first 2 shown]
	v_add_f64 v[108:109], v[165:166], v[108:109]
	v_add_f64 v[110:111], v[167:168], v[110:111]
	v_mul_f64 v[183:184], v[173:174], s[28:29]
	v_mul_f64 v[185:186], v[175:176], s[28:29]
	v_add_f64 v[108:109], v[108:109], v[133:134]
	v_add_f64 v[110:111], v[110:111], v[135:136]
	v_fma_f64 v[88:89], v[169:170], s[8:9], -v[183:184]
	v_fma_f64 v[183:184], v[169:170], s[8:9], v[183:184]
	v_fma_f64 v[90:91], v[171:172], s[8:9], v[185:186]
	v_add_f64 v[108:109], v[108:109], v[137:138]
	v_add_f64 v[110:111], v[110:111], v[139:140]
	;; [unrolled: 1-line block ×3, first 2 shown]
	v_mul_f64 v[189:190], v[187:188], s[18:19]
	v_add_f64 v[98:99], v[183:184], v[98:99]
	v_fma_f64 v[183:184], v[171:172], s[8:9], -v[185:186]
	v_add_f64 v[90:91], v[90:91], v[191:192]
	v_add_f64 v[108:109], v[108:109], v[141:142]
	;; [unrolled: 1-line block ×3, first 2 shown]
	v_fma_f64 v[191:192], v[177:178], s[2:3], -v[189:190]
	v_add_f64 v[96:97], v[183:184], v[96:97]
	v_fma_f64 v[183:184], v[177:178], s[2:3], v[189:190]
	v_add_f64 v[108:109], v[108:109], v[145:146]
	v_add_f64 v[110:111], v[110:111], v[147:148]
	;; [unrolled: 1-line block ×3, first 2 shown]
	v_add_f64 v[191:192], v[133:134], -v[153:154]
	v_add_f64 v[98:99], v[183:184], v[98:99]
	v_add_f64 v[108:109], v[108:109], v[149:150]
	;; [unrolled: 1-line block ×3, first 2 shown]
	v_mul_f64 v[195:196], v[191:192], s[18:19]
	v_add_f64 v[108:109], v[108:109], v[153:154]
	v_add_f64 v[110:111], v[110:111], v[155:156]
	v_fma_f64 v[197:198], v[193:194], s[2:3], v[195:196]
	v_fma_f64 v[183:184], v[193:194], s[2:3], -v[195:196]
	v_add_f64 v[108:109], v[108:109], v[157:158]
	v_add_f64 v[110:111], v[110:111], v[159:160]
	;; [unrolled: 1-line block ×3, first 2 shown]
	v_add_f64 v[197:198], v[139:140], -v[151:152]
	v_add_f64 v[96:97], v[183:184], v[96:97]
	v_add_f64 v[108:109], v[108:109], v[163:164]
	;; [unrolled: 1-line block ×3, first 2 shown]
	v_mul_f64 v[201:202], v[197:198], s[20:21]
	v_fma_f64 v[203:204], v[199:200], s[16:17], -v[201:202]
	v_fma_f64 v[183:184], v[199:200], s[16:17], v[201:202]
	v_add_f64 v[88:89], v[203:204], v[88:89]
	v_add_f64 v[203:204], v[137:138], -v[149:150]
	v_add_f64 v[98:99], v[183:184], v[98:99]
	v_mul_f64 v[207:208], v[203:204], s[20:21]
	v_fma_f64 v[209:210], v[205:206], s[16:17], v[207:208]
	v_fma_f64 v[183:184], v[205:206], s[16:17], -v[207:208]
	v_add_f64 v[90:91], v[209:210], v[90:91]
	v_add_f64 v[209:210], v[143:144], -v[147:148]
	v_add_f64 v[183:184], v[183:184], v[96:97]
	v_mul_f64 v[213:214], v[209:210], s[26:27]
	v_fma_f64 v[215:216], v[211:212], s[22:23], -v[213:214]
	v_fma_f64 v[96:97], v[211:212], s[22:23], v[213:214]
	v_add_f64 v[88:89], v[215:216], v[88:89]
	v_add_f64 v[215:216], v[141:142], -v[145:146]
	v_add_f64 v[96:97], v[96:97], v[98:99]
	v_mul_f64 v[219:220], v[215:216], s[26:27]
	v_fma_f64 v[185:186], v[217:218], s[22:23], -v[219:220]
	v_fma_f64 v[221:222], v[217:218], s[22:23], v[219:220]
	v_mul_f64 v[219:220], v[209:210], s[30:31]
	v_add_f64 v[98:99], v[185:186], v[183:184]
	v_mul_f64 v[183:184], v[173:174], s[20:21]
	v_add_f64 v[90:91], v[221:222], v[90:91]
	v_mul_f64 v[221:222], v[215:216], s[30:31]
	v_fma_f64 v[185:186], v[169:170], s[16:17], -v[183:184]
	v_fma_f64 v[183:184], v[169:170], s[16:17], v[183:184]
	v_add_f64 v[94:95], v[185:186], v[94:95]
	v_mul_f64 v[185:186], v[175:176], s[20:21]
	v_add_f64 v[106:107], v[183:184], v[106:107]
	v_fma_f64 v[189:190], v[171:172], s[16:17], v[185:186]
	v_fma_f64 v[183:184], v[171:172], s[16:17], -v[185:186]
	v_fma_f64 v[185:186], v[217:218], s[10:11], -v[221:222]
	v_add_f64 v[92:93], v[189:190], v[92:93]
	v_mul_f64 v[189:190], v[187:188], s[38:39]
	v_add_f64 v[104:105], v[183:184], v[104:105]
	v_fma_f64 v[195:196], v[177:178], s[22:23], -v[189:190]
	v_fma_f64 v[183:184], v[177:178], s[22:23], v[189:190]
	v_add_f64 v[94:95], v[195:196], v[94:95]
	v_mul_f64 v[195:196], v[191:192], s[38:39]
	v_add_f64 v[106:107], v[183:184], v[106:107]
	v_fma_f64 v[201:202], v[193:194], s[22:23], v[195:196]
	v_fma_f64 v[183:184], v[193:194], s[22:23], -v[195:196]
	v_add_f64 v[92:93], v[201:202], v[92:93]
	v_mul_f64 v[201:202], v[197:198], s[36:37]
	v_add_f64 v[104:105], v[183:184], v[104:105]
	v_fma_f64 v[207:208], v[199:200], s[2:3], -v[201:202]
	v_fma_f64 v[183:184], v[199:200], s[2:3], v[201:202]
	v_add_f64 v[94:95], v[207:208], v[94:95]
	v_mul_f64 v[207:208], v[203:204], s[36:37]
	v_add_f64 v[106:107], v[183:184], v[106:107]
	v_fma_f64 v[183:184], v[205:206], s[2:3], -v[207:208]
	v_fma_f64 v[213:214], v[205:206], s[2:3], v[207:208]
	v_add_f64 v[183:184], v[183:184], v[104:105]
	v_fma_f64 v[104:105], v[211:212], s[10:11], v[219:220]
	v_add_f64 v[213:214], v[213:214], v[92:93]
	v_fma_f64 v[92:93], v[211:212], s[10:11], -v[219:220]
	v_mul_f64 v[219:220], v[209:210], s[20:21]
	v_add_f64 v[104:105], v[104:105], v[106:107]
	v_add_f64 v[106:107], v[185:186], v[183:184]
	v_mul_f64 v[183:184], v[173:174], s[38:39]
	v_add_f64 v[92:93], v[92:93], v[94:95]
	v_fma_f64 v[94:95], v[217:218], s[10:11], v[221:222]
	v_mul_f64 v[221:222], v[215:216], s[20:21]
	v_fma_f64 v[185:186], v[169:170], s[22:23], -v[183:184]
	v_fma_f64 v[183:184], v[169:170], s[22:23], v[183:184]
	v_add_f64 v[94:95], v[94:95], v[213:214]
	v_add_f64 v[102:103], v[185:186], v[102:103]
	v_mul_f64 v[185:186], v[175:176], s[38:39]
	v_add_f64 v[118:119], v[183:184], v[118:119]
	v_fma_f64 v[189:190], v[171:172], s[22:23], v[185:186]
	v_fma_f64 v[183:184], v[171:172], s[22:23], -v[185:186]
	v_fma_f64 v[185:186], v[217:218], s[16:17], -v[221:222]
	v_add_f64 v[100:101], v[189:190], v[100:101]
	v_mul_f64 v[189:190], v[187:188], s[34:35]
	v_add_f64 v[116:117], v[183:184], v[116:117]
	v_fma_f64 v[195:196], v[177:178], s[8:9], -v[189:190]
	v_fma_f64 v[183:184], v[177:178], s[8:9], v[189:190]
	v_add_f64 v[102:103], v[195:196], v[102:103]
	v_mul_f64 v[195:196], v[191:192], s[34:35]
	v_add_f64 v[118:119], v[183:184], v[118:119]
	v_fma_f64 v[201:202], v[193:194], s[8:9], v[195:196]
	v_fma_f64 v[183:184], v[193:194], s[8:9], -v[195:196]
	v_add_f64 v[100:101], v[201:202], v[100:101]
	v_mul_f64 v[201:202], v[197:198], s[24:25]
	v_add_f64 v[116:117], v[183:184], v[116:117]
	v_fma_f64 v[207:208], v[199:200], s[10:11], -v[201:202]
	v_fma_f64 v[183:184], v[199:200], s[10:11], v[201:202]
	v_add_f64 v[102:103], v[207:208], v[102:103]
	v_mul_f64 v[207:208], v[203:204], s[24:25]
	v_add_f64 v[118:119], v[183:184], v[118:119]
	v_fma_f64 v[183:184], v[205:206], s[10:11], -v[207:208]
	v_fma_f64 v[213:214], v[205:206], s[10:11], v[207:208]
	v_add_f64 v[183:184], v[183:184], v[116:117]
	v_fma_f64 v[116:117], v[211:212], s[16:17], v[219:220]
	v_add_f64 v[213:214], v[213:214], v[100:101]
	v_fma_f64 v[100:101], v[211:212], s[16:17], -v[219:220]
	v_mul_f64 v[219:220], v[209:210], s[34:35]
	v_add_f64 v[116:117], v[116:117], v[118:119]
	v_add_f64 v[118:119], v[185:186], v[183:184]
	v_mul_f64 v[183:184], v[173:174], s[36:37]
	v_add_f64 v[100:101], v[100:101], v[102:103]
	v_fma_f64 v[102:103], v[217:218], s[16:17], v[221:222]
	v_mul_f64 v[221:222], v[215:216], s[34:35]
	v_mul_f64 v[173:174], v[173:174], s[30:31]
	v_fma_f64 v[185:186], v[169:170], s[2:3], -v[183:184]
	v_fma_f64 v[183:184], v[169:170], s[2:3], v[183:184]
	v_add_f64 v[102:103], v[102:103], v[213:214]
	v_add_f64 v[114:115], v[185:186], v[114:115]
	v_mul_f64 v[185:186], v[175:176], s[36:37]
	v_add_f64 v[122:123], v[183:184], v[122:123]
	v_mul_f64 v[175:176], v[175:176], s[30:31]
	v_fma_f64 v[189:190], v[171:172], s[2:3], v[185:186]
	v_fma_f64 v[183:184], v[171:172], s[2:3], -v[185:186]
	v_fma_f64 v[185:186], v[217:218], s[8:9], -v[221:222]
	v_add_f64 v[112:113], v[189:190], v[112:113]
	v_mul_f64 v[189:190], v[187:188], s[24:25]
	v_add_f64 v[120:121], v[183:184], v[120:121]
	v_fma_f64 v[195:196], v[177:178], s[10:11], -v[189:190]
	v_fma_f64 v[183:184], v[177:178], s[10:11], v[189:190]
	v_add_f64 v[114:115], v[195:196], v[114:115]
	v_mul_f64 v[195:196], v[191:192], s[24:25]
	v_add_f64 v[122:123], v[183:184], v[122:123]
	v_fma_f64 v[201:202], v[193:194], s[10:11], v[195:196]
	v_fma_f64 v[183:184], v[193:194], s[10:11], -v[195:196]
	v_mul_f64 v[195:196], v[209:210], s[18:19]
	v_add_f64 v[112:113], v[201:202], v[112:113]
	v_mul_f64 v[201:202], v[197:198], s[26:27]
	v_add_f64 v[120:121], v[183:184], v[120:121]
	v_fma_f64 v[207:208], v[199:200], s[22:23], -v[201:202]
	v_fma_f64 v[183:184], v[199:200], s[22:23], v[201:202]
	v_add_f64 v[114:115], v[207:208], v[114:115]
	v_mul_f64 v[207:208], v[203:204], s[26:27]
	v_add_f64 v[122:123], v[183:184], v[122:123]
	v_fma_f64 v[183:184], v[205:206], s[22:23], -v[207:208]
	v_fma_f64 v[213:214], v[205:206], s[22:23], v[207:208]
	v_add_f64 v[183:184], v[183:184], v[120:121]
	v_fma_f64 v[120:121], v[211:212], s[8:9], v[219:220]
	v_add_f64 v[213:214], v[213:214], v[112:113]
	v_fma_f64 v[112:113], v[211:212], s[8:9], -v[219:220]
	v_add_f64 v[120:121], v[120:121], v[122:123]
	v_add_f64 v[122:123], v[185:186], v[183:184]
	v_fma_f64 v[183:184], v[169:170], s[10:11], -v[173:174]
	v_fma_f64 v[169:170], v[169:170], s[10:11], v[173:174]
	v_add_f64 v[112:113], v[112:113], v[114:115]
	v_fma_f64 v[114:115], v[217:218], s[8:9], v[221:222]
	v_add_f64 v[126:127], v[183:184], v[126:127]
	v_fma_f64 v[183:184], v[171:172], s[10:11], v[175:176]
	v_fma_f64 v[171:172], v[171:172], s[10:11], -v[175:176]
	v_add_f64 v[128:129], v[169:170], v[128:129]
	v_add_f64 v[114:115], v[114:115], v[213:214]
	;; [unrolled: 1-line block ×3, first 2 shown]
	v_mul_f64 v[183:184], v[187:188], s[20:21]
	v_add_f64 v[130:131], v[171:172], v[130:131]
	v_fma_f64 v[185:186], v[177:178], s[16:17], -v[183:184]
	v_fma_f64 v[173:174], v[177:178], s[16:17], v[183:184]
	v_add_f64 v[126:127], v[185:186], v[126:127]
	v_mul_f64 v[185:186], v[191:192], s[20:21]
	v_add_f64 v[128:129], v[173:174], v[128:129]
	v_fma_f64 v[173:174], v[211:212], s[2:3], v[195:196]
	v_fma_f64 v[187:188], v[193:194], s[16:17], v[185:186]
	v_fma_f64 v[175:176], v[193:194], s[16:17], -v[185:186]
	v_add_f64 v[124:125], v[187:188], v[124:125]
	v_mul_f64 v[187:188], v[197:198], s[34:35]
	v_mul_f64 v[197:198], v[215:216], s[18:19]
	v_add_f64 v[130:131], v[175:176], v[130:131]
	v_fma_f64 v[189:190], v[199:200], s[8:9], -v[187:188]
	v_fma_f64 v[169:170], v[199:200], s[8:9], v[187:188]
	v_fma_f64 v[175:176], v[217:218], s[2:3], -v[197:198]
	v_add_f64 v[126:127], v[189:190], v[126:127]
	v_mul_f64 v[189:190], v[203:204], s[34:35]
	v_add_f64 v[128:129], v[169:170], v[128:129]
	v_fma_f64 v[191:192], v[205:206], s[8:9], v[189:190]
	v_fma_f64 v[171:172], v[205:206], s[8:9], -v[189:190]
	v_add_f64 v[128:129], v[173:174], v[128:129]
	v_add_f64 v[191:192], v[191:192], v[124:125]
	v_fma_f64 v[124:125], v[211:212], s[2:3], -v[195:196]
	v_add_f64 v[130:131], v[171:172], v[130:131]
	v_add_f64 v[124:125], v[124:125], v[126:127]
	v_fma_f64 v[126:127], v[217:218], s[2:3], v[197:198]
	v_add_f64 v[130:131], v[175:176], v[130:131]
	v_add_f64 v[126:127], v[126:127], v[191:192]
	ds_write_b128 v179, v[88:91] offset:2288
	ds_write_b128 v179, v[92:95] offset:4576
	;; [unrolled: 1-line block ×10, first 2 shown]
	ds_write_b128 v179, v[108:111]
	s_waitcnt lgkmcnt(0)
	s_barrier
	buffer_gl0_inv
	s_and_saveexec_b32 s1, vcc_lo
	s_cbranch_execz .LBB0_9
; %bb.8:
	v_add_co_u32 v133, s0, s14, v179
	v_add_co_ci_u32_e64 v134, null, s15, 0, s0
	v_add_co_u32 v135, s0, 0x6000, v133
	v_add_co_ci_u32_e64 v136, s0, 0, v134, s0
	v_add_co_u32 v139, s0, 0x6250, v133
	v_add_co_ci_u32_e64 v140, s0, 0, v134, s0
	global_load_dwordx4 v[135:138], v[135:136], off offset:592
	v_add_co_u32 v143, s0, 0x7000, v133
	global_load_dwordx4 v[139:142], v[139:140], off offset:1936
	v_add_co_ci_u32_e64 v144, s0, 0, v134, s0
	v_add_co_u32 v147, s0, 0x7800, v133
	v_add_co_ci_u32_e64 v148, s0, 0, v134, s0
	global_load_dwordx4 v[143:146], v[143:144], off offset:368
	v_add_co_u32 v151, s0, 0x8000, v133
	global_load_dwordx4 v[147:150], v[147:148], off offset:256
	v_add_co_ci_u32_e64 v152, s0, 0, v134, s0
	v_add_co_u32 v159, s0, 0x8800, v133
	v_add_co_ci_u32_e64 v160, s0, 0, v134, s0
	s_clause 0x2
	global_load_dwordx4 v[151:154], v[151:152], off offset:144
	global_load_dwordx4 v[155:158], v[159:160], off offset:32
	;; [unrolled: 1-line block ×3, first 2 shown]
	v_add_co_u32 v163, s0, 0x9000, v133
	v_add_co_ci_u32_e64 v164, s0, 0, v134, s0
	v_add_co_u32 v167, s0, 0x9800, v133
	v_add_co_ci_u32_e64 v168, s0, 0, v134, s0
	global_load_dwordx4 v[163:166], v[163:164], off offset:1856
	v_add_co_u32 v171, s0, 0xa000, v133
	global_load_dwordx4 v[167:170], v[167:168], off offset:1744
	v_add_co_ci_u32_e64 v172, s0, 0, v134, s0
	global_load_dwordx4 v[171:174], v[171:172], off offset:1632
	ds_read_b128 v[175:178], v179
	ds_read_b128 v[183:186], v179 offset:1936
	s_waitcnt vmcnt(9) lgkmcnt(1)
	v_mul_f64 v[187:188], v[177:178], v[137:138]
	v_mul_f64 v[137:138], v[175:176], v[137:138]
	s_waitcnt vmcnt(8) lgkmcnt(0)
	v_mul_f64 v[189:190], v[185:186], v[141:142]
	v_mul_f64 v[141:142], v[183:184], v[141:142]
	v_fma_f64 v[175:176], v[175:176], v[135:136], -v[187:188]
	v_fma_f64 v[177:178], v[177:178], v[135:136], v[137:138]
	ds_read_b128 v[135:138], v179 offset:3872
	v_fma_f64 v[183:184], v[183:184], v[139:140], -v[189:190]
	v_fma_f64 v[185:186], v[185:186], v[139:140], v[141:142]
	ds_read_b128 v[139:142], v179 offset:5808
	s_waitcnt vmcnt(7) lgkmcnt(1)
	v_mul_f64 v[187:188], v[137:138], v[145:146]
	v_mul_f64 v[145:146], v[135:136], v[145:146]
	s_waitcnt vmcnt(6) lgkmcnt(0)
	v_mul_f64 v[189:190], v[141:142], v[149:150]
	v_mul_f64 v[149:150], v[139:140], v[149:150]
	v_fma_f64 v[135:136], v[135:136], v[143:144], -v[187:188]
	v_fma_f64 v[137:138], v[137:138], v[143:144], v[145:146]
	ds_read_b128 v[143:146], v179 offset:7744
	v_fma_f64 v[139:140], v[139:140], v[147:148], -v[189:190]
	v_fma_f64 v[141:142], v[141:142], v[147:148], v[149:150]
	;; [unrolled: 12-line block ×4, first 2 shown]
	ds_read_b128 v[163:166], v179 offset:17424
	v_add_co_u32 v189, s0, 0xa800, v133
	v_add_co_ci_u32_e64 v190, s0, 0, v134, s0
	s_waitcnt vmcnt(1) lgkmcnt(1)
	v_mul_f64 v[187:188], v[161:162], v[169:170]
	v_mul_f64 v[169:170], v[159:160], v[169:170]
	v_fma_f64 v[159:160], v[159:160], v[167:168], -v[187:188]
	v_fma_f64 v[161:162], v[161:162], v[167:168], v[169:170]
	global_load_dwordx4 v[167:170], v[189:190], off offset:1520
	s_waitcnt vmcnt(1) lgkmcnt(0)
	v_mul_f64 v[187:188], v[165:166], v[173:174]
	v_mul_f64 v[173:174], v[163:164], v[173:174]
	v_add_co_u32 v189, s0, 0xb000, v133
	v_add_co_ci_u32_e64 v190, s0, 0, v134, s0
	v_add_co_u32 v133, s0, 0xb800, v133
	v_add_co_ci_u32_e64 v134, s0, 0, v134, s0
	v_fma_f64 v[163:164], v[163:164], v[171:172], -v[187:188]
	v_fma_f64 v[165:166], v[165:166], v[171:172], v[173:174]
	global_load_dwordx4 v[171:174], v[189:190], off offset:1408
	ds_read_b128 v[187:190], v179 offset:19360
	ds_read_b128 v[191:194], v179 offset:21296
	s_waitcnt vmcnt(1) lgkmcnt(1)
	v_mul_f64 v[195:196], v[189:190], v[169:170]
	v_mul_f64 v[169:170], v[187:188], v[169:170]
	v_fma_f64 v[187:188], v[187:188], v[167:168], -v[195:196]
	v_fma_f64 v[189:190], v[189:190], v[167:168], v[169:170]
	s_waitcnt vmcnt(0) lgkmcnt(0)
	v_mul_f64 v[167:168], v[193:194], v[173:174]
	v_mul_f64 v[169:170], v[191:192], v[173:174]
	v_fma_f64 v[167:168], v[191:192], v[171:172], -v[167:168]
	v_fma_f64 v[169:170], v[193:194], v[171:172], v[169:170]
	global_load_dwordx4 v[171:174], v[133:134], off offset:1296
	ds_read_b128 v[191:194], v179 offset:23232
	s_waitcnt vmcnt(0) lgkmcnt(0)
	v_mul_f64 v[133:134], v[193:194], v[173:174]
	v_mul_f64 v[173:174], v[191:192], v[173:174]
	v_fma_f64 v[191:192], v[191:192], v[171:172], -v[133:134]
	v_fma_f64 v[193:194], v[193:194], v[171:172], v[173:174]
	ds_write_b128 v179, v[175:178]
	ds_write_b128 v179, v[183:186] offset:1936
	ds_write_b128 v179, v[135:138] offset:3872
	;; [unrolled: 1-line block ×12, first 2 shown]
.LBB0_9:
	s_or_b32 exec_lo, exec_lo, s1
	s_waitcnt lgkmcnt(0)
	s_barrier
	buffer_gl0_inv
	s_and_saveexec_b32 s0, vcc_lo
	s_cbranch_execz .LBB0_11
; %bb.10:
	ds_read_b128 v[108:111], v179
	ds_read_b128 v[88:91], v179 offset:1936
	ds_read_b128 v[92:95], v179 offset:3872
	;; [unrolled: 1-line block ×12, first 2 shown]
.LBB0_11:
	s_or_b32 exec_lo, exec_lo, s0
	s_waitcnt lgkmcnt(0)
	s_barrier
	buffer_gl0_inv
	s_and_saveexec_b32 s33, vcc_lo
	s_cbranch_execz .LBB0_13
; %bb.12:
	v_add_f64 v[133:134], v[110:111], v[90:91]
	v_add_f64 v[135:136], v[108:109], v[88:89]
	v_add_f64 v[139:140], v[128:129], -v[120:121]
	v_add_f64 v[141:142], v[124:125], v[116:117]
	v_add_f64 v[143:144], v[114:115], v[106:107]
	;; [unrolled: 1-line block ×7, first 2 shown]
	s_mov_b32 s37, 0x3fddbe06
	s_mov_b32 s36, 0x4267c47c
	;; [unrolled: 1-line block ×12, first 2 shown]
	v_add_f64 v[133:134], v[133:134], v[94:95]
	v_add_f64 v[135:136], v[135:136], v[92:93]
	s_mov_b32 s27, 0xbfea55e2
	s_mov_b32 s23, 0xbfefc445
	;; [unrolled: 1-line block ×4, first 2 shown]
	v_mul_f64 v[161:162], v[139:140], s[36:37]
	s_mov_b32 s10, 0xebaa3ed8
	s_mov_b32 s8, 0xb2365da1
	;; [unrolled: 1-line block ×12, first 2 shown]
	v_mul_f64 v[211:212], v[139:140], s[34:35]
	s_mov_b32 s39, 0x3fe5384d
	s_mov_b32 s38, s24
	v_add_f64 v[133:134], v[133:134], v[102:103]
	v_add_f64 v[135:136], v[135:136], v[100:101]
	v_mul_f64 v[237:238], v[139:140], s[24:25]
	v_add_f64 v[133:134], v[133:134], v[114:115]
	v_add_f64 v[135:136], v[135:136], v[112:113]
	v_add_f64 v[114:115], v[114:115], -v[106:107]
	v_add_f64 v[133:134], v[133:134], v[126:127]
	v_add_f64 v[135:136], v[135:136], v[124:125]
	v_mul_f64 v[159:160], v[114:115], s[36:37]
	v_mul_f64 v[223:224], v[114:115], s[38:39]
	v_add_f64 v[137:138], v[133:134], v[130:131]
	v_add_f64 v[135:136], v[135:136], v[128:129]
	;; [unrolled: 1-line block ×4, first 2 shown]
	v_add_f64 v[130:131], v[130:131], -v[122:123]
	v_add_f64 v[122:123], v[137:138], v[122:123]
	v_add_f64 v[120:121], v[135:136], v[120:121]
	v_add_f64 v[135:136], v[124:125], -v[116:117]
	v_add_f64 v[137:138], v[126:127], v[118:119]
	v_add_f64 v[126:127], v[126:127], -v[118:119]
	v_mul_f64 v[163:164], v[130:131], s[36:37]
	v_mul_f64 v[213:214], v[130:131], s[34:35]
	;; [unrolled: 1-line block ×3, first 2 shown]
	v_add_f64 v[118:119], v[122:123], v[118:119]
	v_add_f64 v[116:117], v[120:121], v[116:117]
	v_add_f64 v[120:121], v[112:113], -v[104:105]
	v_add_f64 v[112:113], v[100:101], -v[96:97]
	;; [unrolled: 1-line block ×3, first 2 shown]
	v_mul_f64 v[100:101], v[135:136], s[36:37]
	v_add_f64 v[94:95], v[90:91], -v[2:3]
	v_add_f64 v[90:91], v[90:91], v[2:3]
	v_mul_f64 v[225:226], v[135:136], s[34:35]
	v_mul_f64 v[227:228], v[126:127], s[34:35]
	v_mul_f64 v[233:234], v[135:136], s[26:27]
	v_mul_f64 v[235:236], v[126:127], s[26:27]
	v_add_f64 v[106:107], v[118:119], v[106:107]
	v_add_f64 v[104:105], v[116:117], v[104:105]
	v_add_f64 v[116:117], v[102:103], -v[98:99]
	v_add_f64 v[118:119], v[92:93], -v[4:5]
	;; [unrolled: 1-line block ×3, first 2 shown]
	v_mul_f64 v[102:103], v[126:127], s[36:37]
	v_mul_f64 v[124:125], v[112:113], s[36:37]
	;; [unrolled: 1-line block ×3, first 2 shown]
	v_add_f64 v[88:89], v[88:89], v[0:1]
	v_mul_f64 v[183:184], v[94:95], s[24:25]
	v_mul_f64 v[185:186], v[94:95], s[30:31]
	;; [unrolled: 1-line block ×8, first 2 shown]
	v_add_f64 v[98:99], v[106:107], v[98:99]
	v_add_f64 v[96:97], v[104:105], v[96:97]
	v_mul_f64 v[155:156], v[116:117], s[36:37]
	v_mul_f64 v[219:220], v[116:117], s[28:29]
	;; [unrolled: 1-line block ×6, first 2 shown]
	v_fma_f64 v[193:194], v[88:89], s[2:3], -v[183:184]
	v_fma_f64 v[183:184], v[88:89], s[2:3], v[183:184]
	v_fma_f64 v[195:196], v[88:89], s[8:9], -v[185:186]
	v_fma_f64 v[185:186], v[88:89], s[8:9], v[185:186]
	;; [unrolled: 2-line block ×3, first 2 shown]
	v_fma_f64 v[199:200], v[88:89], s[16:17], v[189:190]
	v_fma_f64 v[189:190], v[88:89], s[16:17], -v[189:190]
	v_add_f64 v[6:7], v[98:99], v[6:7]
	v_add_f64 v[4:5], v[96:97], v[4:5]
	v_mul_f64 v[96:97], v[118:119], s[36:37]
	v_mul_f64 v[98:99], v[122:123], s[36:37]
	s_mov_b32 s37, 0xbfddbe06
	v_fma_f64 v[171:172], v[90:91], s[8:9], v[104:105]
	v_fma_f64 v[104:105], v[90:91], s[8:9], -v[104:105]
	v_fma_f64 v[173:174], v[90:91], s[10:11], v[106:107]
	v_fma_f64 v[106:107], v[90:91], s[10:11], -v[106:107]
	v_fma_f64 v[175:176], v[90:91], s[16:17], -v[165:166]
	v_fma_f64 v[165:166], v[90:91], s[16:17], v[165:166]
	v_add_f64 v[193:194], v[108:109], v[193:194]
	v_add_f64 v[183:184], v[108:109], v[183:184]
	;; [unrolled: 1-line block ×8, first 2 shown]
	v_mul_f64 v[4:5], v[92:93], s[28:29]
	v_mul_f64 v[6:7], v[92:93], s[24:25]
	;; [unrolled: 1-line block ×3, first 2 shown]
	v_add_f64 v[171:172], v[110:111], v[171:172]
	v_add_f64 v[205:206], v[110:111], v[104:105]
	;; [unrolled: 1-line block ×8, first 2 shown]
	v_fma_f64 v[167:168], v[90:91], s[0:1], v[4:5]
	v_fma_f64 v[4:5], v[90:91], s[0:1], -v[4:5]
	v_fma_f64 v[169:170], v[90:91], s[2:3], v[6:7]
	v_fma_f64 v[6:7], v[90:91], s[2:3], -v[6:7]
	v_fma_f64 v[177:178], v[90:91], s[18:19], -v[92:93]
	v_fma_f64 v[90:91], v[90:91], s[18:19], v[92:93]
	v_mul_f64 v[92:93], v[94:95], s[28:29]
	v_mul_f64 v[94:95], v[94:95], s[36:37]
	s_mov_b32 s37, 0x3fcea1e5
	s_mov_b32 s36, s28
	v_add_f64 v[169:170], v[110:111], v[169:170]
	v_add_f64 v[203:204], v[110:111], v[6:7]
	v_fma_f64 v[6:7], v[153:154], s[18:19], -v[98:99]
	v_add_f64 v[199:200], v[110:111], v[90:91]
	v_fma_f64 v[191:192], v[88:89], s[0:1], -v[92:93]
	v_fma_f64 v[92:93], v[88:89], s[0:1], v[92:93]
	v_fma_f64 v[201:202], v[88:89], s[18:19], v[94:95]
	v_fma_f64 v[88:89], v[88:89], s[18:19], -v[94:95]
	v_add_f64 v[94:95], v[110:111], v[167:168]
	v_fma_f64 v[98:99], v[153:154], s[18:19], v[98:99]
	v_add_f64 v[177:178], v[110:111], v[177:178]
	v_add_f64 v[167:168], v[108:109], v[191:192]
	;; [unrolled: 1-line block ×5, first 2 shown]
	v_fma_f64 v[4:5], v[151:152], s[18:19], v[96:97]
	v_mul_f64 v[88:89], v[112:113], s[24:25]
	v_add_f64 v[92:93], v[108:109], v[92:93]
	v_fma_f64 v[96:97], v[151:152], s[18:19], -v[96:97]
	v_add_f64 v[6:7], v[6:7], v[167:168]
	v_add_f64 v[4:5], v[4:5], v[94:95]
	v_fma_f64 v[90:91], v[147:148], s[2:3], v[88:89]
	v_add_f64 v[92:93], v[98:99], v[92:93]
	v_add_f64 v[96:97], v[96:97], v[191:192]
	v_fma_f64 v[88:89], v[147:148], s[2:3], -v[88:89]
	v_mul_f64 v[98:99], v[122:123], s[34:35]
	v_add_f64 v[4:5], v[90:91], v[4:5]
	v_mul_f64 v[90:91], v[116:117], s[24:25]
	v_add_f64 v[88:89], v[88:89], v[96:97]
	v_mul_f64 v[96:97], v[118:119], s[34:35]
	v_fma_f64 v[94:95], v[149:150], s[2:3], -v[90:91]
	v_fma_f64 v[90:91], v[149:150], s[2:3], v[90:91]
	v_add_f64 v[6:7], v[94:95], v[6:7]
	v_mul_f64 v[94:95], v[120:121], s[20:21]
	v_add_f64 v[90:91], v[90:91], v[92:93]
	v_fma_f64 v[108:109], v[143:144], s[16:17], v[94:95]
	v_fma_f64 v[92:93], v[143:144], s[16:17], -v[94:95]
	v_fma_f64 v[94:95], v[128:129], s[10:11], v[213:214]
	v_add_f64 v[4:5], v[108:109], v[4:5]
	v_mul_f64 v[108:109], v[114:115], s[20:21]
	v_add_f64 v[88:89], v[92:93], v[88:89]
	v_fma_f64 v[110:111], v[145:146], s[16:17], -v[108:109]
	v_fma_f64 v[92:93], v[145:146], s[16:17], v[108:109]
	v_mul_f64 v[108:109], v[112:113], s[26:27]
	v_add_f64 v[6:7], v[110:111], v[6:7]
	v_mul_f64 v[110:111], v[135:136], s[30:31]
	v_add_f64 v[90:91], v[92:93], v[90:91]
	v_fma_f64 v[167:168], v[137:138], s[8:9], v[110:111]
	v_fma_f64 v[92:93], v[137:138], s[8:9], -v[110:111]
	v_fma_f64 v[110:111], v[147:148], s[16:17], v[108:109]
	v_fma_f64 v[108:109], v[147:148], s[16:17], -v[108:109]
	v_add_f64 v[4:5], v[167:168], v[4:5]
	v_mul_f64 v[167:168], v[126:127], s[30:31]
	v_add_f64 v[88:89], v[92:93], v[88:89]
	v_fma_f64 v[92:93], v[141:142], s[8:9], v[167:168]
	v_fma_f64 v[209:210], v[141:142], s[8:9], -v[167:168]
	v_add_f64 v[92:93], v[92:93], v[90:91]
	v_fma_f64 v[90:91], v[133:134], s[10:11], -v[211:212]
	v_add_f64 v[209:210], v[209:210], v[6:7]
	v_fma_f64 v[6:7], v[133:134], s[10:11], v[211:212]
	v_mul_f64 v[211:212], v[130:131], s[28:29]
	v_add_f64 v[90:91], v[90:91], v[88:89]
	v_add_f64 v[88:89], v[94:95], v[92:93]
	v_fma_f64 v[92:93], v[151:152], s[10:11], v[96:97]
	v_fma_f64 v[94:95], v[153:154], s[10:11], -v[98:99]
	v_fma_f64 v[96:97], v[151:152], s[10:11], -v[96:97]
	v_fma_f64 v[98:99], v[153:154], s[10:11], v[98:99]
	v_add_f64 v[6:7], v[6:7], v[4:5]
	v_fma_f64 v[4:5], v[128:129], s[10:11], -v[213:214]
	v_mul_f64 v[213:214], v[118:119], s[30:31]
	v_add_f64 v[92:93], v[92:93], v[169:170]
	v_add_f64 v[94:95], v[94:95], v[193:194]
	;; [unrolled: 1-line block ×4, first 2 shown]
	v_mul_f64 v[193:194], v[139:140], s[30:31]
	v_add_f64 v[4:5], v[4:5], v[209:210]
	v_mul_f64 v[209:210], v[130:131], s[30:31]
	v_mul_f64 v[183:184], v[116:117], s[22:23]
	;; [unrolled: 1-line block ×5, first 2 shown]
	v_add_f64 v[92:93], v[110:111], v[92:93]
	v_mul_f64 v[110:111], v[116:117], s[26:27]
	v_add_f64 v[96:97], v[108:109], v[96:97]
	v_fma_f64 v[167:168], v[149:150], s[16:17], -v[110:111]
	v_fma_f64 v[108:109], v[149:150], s[16:17], v[110:111]
	v_add_f64 v[94:95], v[167:168], v[94:95]
	v_mul_f64 v[167:168], v[120:121], s[36:37]
	v_add_f64 v[98:99], v[108:109], v[98:99]
	v_fma_f64 v[169:170], v[143:144], s[0:1], v[167:168]
	v_fma_f64 v[108:109], v[143:144], s[0:1], -v[167:168]
	v_mul_f64 v[167:168], v[118:119], s[26:27]
	v_add_f64 v[92:93], v[169:170], v[92:93]
	v_mul_f64 v[169:170], v[114:115], s[36:37]
	v_add_f64 v[96:97], v[108:109], v[96:97]
	v_fma_f64 v[191:192], v[145:146], s[0:1], -v[169:170]
	v_fma_f64 v[108:109], v[145:146], s[0:1], v[169:170]
	v_mul_f64 v[169:170], v[122:123], s[26:27]
	v_add_f64 v[94:95], v[191:192], v[94:95]
	v_fma_f64 v[191:192], v[137:138], s[18:19], v[100:101]
	v_fma_f64 v[100:101], v[137:138], s[18:19], -v[100:101]
	v_add_f64 v[98:99], v[108:109], v[98:99]
	v_add_f64 v[92:93], v[191:192], v[92:93]
	;; [unrolled: 1-line block ×3, first 2 shown]
	v_fma_f64 v[100:101], v[141:142], s[18:19], v[102:103]
	v_fma_f64 v[191:192], v[141:142], s[18:19], -v[102:103]
	v_fma_f64 v[102:103], v[128:129], s[8:9], v[209:210]
	v_add_f64 v[100:101], v[100:101], v[98:99]
	v_fma_f64 v[98:99], v[133:134], s[8:9], -v[193:194]
	v_add_f64 v[191:192], v[191:192], v[94:95]
	v_fma_f64 v[94:95], v[133:134], s[8:9], v[193:194]
	v_mul_f64 v[193:194], v[135:136], s[24:25]
	v_add_f64 v[98:99], v[98:99], v[96:97]
	v_add_f64 v[96:97], v[102:103], v[100:101]
	v_fma_f64 v[100:101], v[151:152], s[16:17], -v[167:168]
	v_fma_f64 v[102:103], v[153:154], s[16:17], v[169:170]
	v_add_f64 v[94:95], v[94:95], v[92:93]
	v_fma_f64 v[92:93], v[128:129], s[8:9], -v[209:210]
	v_mul_f64 v[209:210], v[139:140], s[28:29]
	v_mul_f64 v[139:140], v[139:140], s[20:21]
	v_add_f64 v[100:101], v[100:101], v[177:178]
	v_mul_f64 v[177:178], v[112:113], s[22:23]
	v_add_f64 v[102:103], v[102:103], v[189:190]
	;; [unrolled: 2-line block ×3, first 2 shown]
	v_mul_f64 v[191:192], v[114:115], s[30:31]
	s_mov_b32 s31, 0x3fedeba7
	v_mul_f64 v[120:121], v[120:121], s[22:23]
	v_fma_f64 v[108:109], v[147:148], s[10:11], -v[177:178]
	v_add_f64 v[100:101], v[108:109], v[100:101]
	v_fma_f64 v[108:109], v[149:150], s[10:11], v[183:184]
	v_add_f64 v[102:103], v[108:109], v[102:103]
	v_fma_f64 v[108:109], v[143:144], s[8:9], -v[189:190]
	v_add_f64 v[100:101], v[108:109], v[100:101]
	v_fma_f64 v[108:109], v[145:146], s[8:9], v[191:192]
	v_add_f64 v[102:103], v[108:109], v[102:103]
	;; [unrolled: 4-line block ×9, first 2 shown]
	v_fma_f64 v[108:109], v[151:152], s[0:1], -v[229:230]
	v_add_f64 v[108:109], v[108:109], v[207:208]
	v_mul_f64 v[207:208], v[112:113], s[30:31]
	v_fma_f64 v[110:111], v[147:148], s[8:9], -v[207:208]
	v_add_f64 v[108:109], v[110:111], v[108:109]
	v_fma_f64 v[110:111], v[143:144], s[18:19], -v[157:158]
	v_add_f64 v[108:109], v[110:111], v[108:109]
	v_fma_f64 v[110:111], v[153:154], s[0:1], v[231:232]
	v_add_f64 v[110:111], v[110:111], v[187:188]
	v_mul_f64 v[187:188], v[116:117], s[30:31]
	v_mul_f64 v[116:117], v[118:119], s[38:39]
	;; [unrolled: 1-line block ×3, first 2 shown]
	v_fma_f64 v[112:113], v[149:150], s[8:9], v[187:188]
	v_fma_f64 v[122:123], v[153:154], s[2:3], v[118:119]
	v_fma_f64 v[118:119], v[153:154], s[2:3], -v[118:119]
	v_add_f64 v[110:111], v[112:113], v[110:111]
	v_fma_f64 v[112:113], v[145:146], s[18:19], v[159:160]
	v_add_f64 v[122:123], v[122:123], v[185:186]
	v_fma_f64 v[185:186], v[147:148], s[18:19], -v[124:125]
	v_fma_f64 v[124:125], v[147:148], s[18:19], v[124:125]
	v_add_f64 v[118:119], v[118:119], v[195:196]
	v_add_f64 v[110:111], v[112:113], v[110:111]
	v_fma_f64 v[112:113], v[137:138], s[16:17], -v[233:234]
	v_add_f64 v[108:109], v[112:113], v[108:109]
	v_fma_f64 v[112:113], v[141:142], s[16:17], v[235:236]
	v_add_f64 v[112:113], v[112:113], v[110:111]
	v_fma_f64 v[110:111], v[133:134], s[2:3], -v[237:238]
	v_add_f64 v[110:111], v[110:111], v[108:109]
	v_fma_f64 v[108:109], v[128:129], s[2:3], v[239:240]
	v_add_f64 v[108:109], v[108:109], v[112:113]
	v_fma_f64 v[112:113], v[151:152], s[2:3], -v[116:117]
	v_fma_f64 v[116:117], v[151:152], s[2:3], v[116:117]
	v_add_f64 v[112:113], v[112:113], v[205:206]
	v_add_f64 v[116:117], v[116:117], v[171:172]
	;; [unrolled: 1-line block ×3, first 2 shown]
	v_fma_f64 v[185:186], v[149:150], s[18:19], v[155:156]
	v_add_f64 v[116:117], v[124:125], v[116:117]
	v_fma_f64 v[124:125], v[149:150], s[18:19], -v[155:156]
	v_add_f64 v[122:123], v[185:186], v[122:123]
	v_fma_f64 v[185:186], v[143:144], s[10:11], -v[120:121]
	v_fma_f64 v[120:121], v[143:144], s[10:11], v[120:121]
	v_add_f64 v[118:119], v[124:125], v[118:119]
	v_fma_f64 v[124:125], v[147:148], s[8:9], v[207:208]
	v_add_f64 v[112:113], v[185:186], v[112:113]
	v_mul_f64 v[185:186], v[114:115], s[22:23]
	v_add_f64 v[116:117], v[120:121], v[116:117]
	v_fma_f64 v[114:115], v[145:146], s[10:11], v[185:186]
	v_fma_f64 v[120:121], v[145:146], s[10:11], -v[185:186]
	v_add_f64 v[114:115], v[114:115], v[122:123]
	v_mul_f64 v[122:123], v[135:136], s[36:37]
	v_add_f64 v[118:119], v[120:121], v[118:119]
	v_fma_f64 v[120:121], v[137:138], s[0:1], v[122:123]
	v_fma_f64 v[135:136], v[137:138], s[0:1], -v[122:123]
	v_fma_f64 v[122:123], v[128:129], s[16:17], -v[130:131]
	v_add_f64 v[116:117], v[120:121], v[116:117]
	v_fma_f64 v[120:121], v[141:142], s[0:1], -v[126:127]
	v_add_f64 v[112:113], v[135:136], v[112:113]
	v_fma_f64 v[135:136], v[141:142], s[0:1], v[126:127]
	v_fma_f64 v[126:127], v[128:129], s[2:3], -v[239:240]
	v_add_f64 v[120:121], v[120:121], v[118:119]
	v_fma_f64 v[118:119], v[133:134], s[16:17], v[139:140]
	v_add_f64 v[135:136], v[135:136], v[114:115]
	v_fma_f64 v[114:115], v[133:134], s[16:17], -v[139:140]
	v_fma_f64 v[139:140], v[147:148], s[10:11], v[177:178]
	v_add_f64 v[118:119], v[118:119], v[116:117]
	v_add_f64 v[116:117], v[122:123], v[120:121]
	v_fma_f64 v[120:121], v[151:152], s[0:1], v[229:230]
	v_fma_f64 v[122:123], v[153:154], s[0:1], -v[231:232]
	v_add_f64 v[114:115], v[114:115], v[112:113]
	v_fma_f64 v[112:113], v[128:129], s[16:17], v[130:131]
	v_fma_f64 v[130:131], v[147:148], s[0:1], v[217:218]
	v_fma_f64 v[147:148], v[149:150], s[10:11], -v[183:184]
	v_add_f64 v[120:121], v[120:121], v[173:174]
	v_add_f64 v[122:123], v[122:123], v[197:198]
	;; [unrolled: 1-line block ×3, first 2 shown]
	v_fma_f64 v[135:136], v[128:129], s[18:19], -v[163:164]
	v_fma_f64 v[128:129], v[128:129], s[0:1], -v[211:212]
	v_add_f64 v[120:121], v[124:125], v[120:121]
	v_fma_f64 v[124:125], v[149:150], s[8:9], -v[187:188]
	v_add_f64 v[122:123], v[124:125], v[122:123]
	v_fma_f64 v[124:125], v[143:144], s[18:19], v[157:158]
	v_add_f64 v[120:121], v[124:125], v[120:121]
	v_fma_f64 v[124:125], v[145:146], s[18:19], -v[159:160]
	v_add_f64 v[122:123], v[124:125], v[122:123]
	v_fma_f64 v[124:125], v[137:138], s[16:17], v[233:234]
	;; [unrolled: 4-line block ×3, first 2 shown]
	v_add_f64 v[122:123], v[122:123], v[120:121]
	v_add_f64 v[120:121], v[126:127], v[124:125]
	v_fma_f64 v[124:125], v[151:152], s[8:9], v[213:214]
	v_fma_f64 v[126:127], v[153:154], s[8:9], -v[215:216]
	v_add_f64 v[124:125], v[124:125], v[165:166]
	v_add_f64 v[126:127], v[126:127], v[175:176]
	;; [unrolled: 1-line block ×3, first 2 shown]
	v_fma_f64 v[130:131], v[149:150], s[0:1], -v[219:220]
	v_add_f64 v[126:127], v[130:131], v[126:127]
	v_fma_f64 v[130:131], v[143:144], s[2:3], v[221:222]
	v_fma_f64 v[143:144], v[143:144], s[8:9], v[189:190]
	v_add_f64 v[124:125], v[130:131], v[124:125]
	v_fma_f64 v[130:131], v[145:146], s[2:3], -v[223:224]
	v_add_f64 v[126:127], v[130:131], v[126:127]
	v_fma_f64 v[130:131], v[137:138], s[10:11], v[225:226]
	v_fma_f64 v[137:138], v[137:138], s[2:3], v[193:194]
	v_add_f64 v[124:125], v[130:131], v[124:125]
	v_fma_f64 v[130:131], v[141:142], s[10:11], -v[227:228]
	v_fma_f64 v[141:142], v[141:142], s[2:3], -v[203:204]
	v_add_f64 v[130:131], v[130:131], v[126:127]
	v_fma_f64 v[126:127], v[133:134], s[18:19], v[161:162]
	v_fma_f64 v[133:134], v[133:134], s[0:1], v[209:210]
	v_add_f64 v[126:127], v[126:127], v[124:125]
	v_add_f64 v[124:125], v[135:136], v[130:131]
	v_fma_f64 v[130:131], v[151:152], s[16:17], v[167:168]
	v_fma_f64 v[135:136], v[153:154], s[16:17], -v[169:170]
	v_add_f64 v[130:131], v[130:131], v[199:200]
	v_add_f64 v[135:136], v[135:136], v[201:202]
	;; [unrolled: 1-line block ×3, first 2 shown]
	v_fma_f64 v[139:140], v[145:146], s[8:9], -v[191:192]
	v_add_f64 v[135:136], v[147:148], v[135:136]
	v_add_f64 v[130:131], v[143:144], v[130:131]
	;; [unrolled: 1-line block ×6, first 2 shown]
	v_mov_b32_e32 v133, 4
	v_add_f64 v[128:129], v[128:129], v[135:136]
	v_lshlrev_b32_sdwa v133, v133, v181 dst_sel:DWORD dst_unused:UNUSED_PAD src0_sel:DWORD src1_sel:WORD_0
	ds_write_b128 v133, v[0:3]
	ds_write_b128 v133, v[100:103] offset:16
	ds_write_b128 v133, v[104:107] offset:32
	;; [unrolled: 1-line block ×12, first 2 shown]
.LBB0_13:
	s_or_b32 exec_lo, exec_lo, s33
	s_waitcnt lgkmcnt(0)
	s_barrier
	buffer_gl0_inv
	ds_read_b128 v[4:7], v179 offset:2288
	ds_read_b128 v[0:3], v179
	ds_read_b128 v[88:91], v179 offset:4576
	ds_read_b128 v[92:95], v179 offset:6864
	;; [unrolled: 1-line block ×9, first 2 shown]
	s_mov_b32 s8, 0x8764f0ba
	s_mov_b32 s2, 0xf8bb580b
	;; [unrolled: 1-line block ×9, first 2 shown]
	s_waitcnt lgkmcnt(10)
	v_mul_f64 v[124:125], v[30:31], v[6:7]
	v_mul_f64 v[30:31], v[30:31], v[4:5]
	s_waitcnt lgkmcnt(8)
	v_mul_f64 v[128:129], v[26:27], v[90:91]
	v_mul_f64 v[26:27], v[26:27], v[88:89]
	s_waitcnt lgkmcnt(6)
	v_mul_f64 v[133:134], v[10:11], v[98:99]
	v_mul_f64 v[10:11], v[10:11], v[96:97]
	s_mov_b32 s18, 0xd9c712b6
	s_waitcnt lgkmcnt(3)
	v_mul_f64 v[135:136], v[34:35], v[110:111]
	s_waitcnt lgkmcnt(2)
	v_mul_f64 v[130:131], v[38:39], v[114:115]
	v_mul_f64 v[38:39], v[38:39], v[112:113]
	s_waitcnt lgkmcnt(0)
	v_mul_f64 v[126:127], v[46:47], v[120:121]
	v_mul_f64 v[34:35], v[34:35], v[108:109]
	s_mov_b32 s24, 0xbb3a28a1
	s_mov_b32 s28, 0x7f775887
	s_mov_b32 s30, 0xfd768dbf
	s_mov_b32 s36, 0x9bcd5057
	s_mov_b32 s1, 0x3fe14ced
	s_mov_b32 s11, 0xbfed1bb4
	s_mov_b32 s19, 0x3fda9628
	s_mov_b32 s25, 0xbfe82f19
	s_mov_b32 s29, 0xbfe4f49e
	s_mov_b32 s31, 0xbfd207e7
	v_fma_f64 v[124:125], v[28:29], v[4:5], v[124:125]
	v_fma_f64 v[28:29], v[28:29], v[6:7], -v[30:31]
	v_mul_f64 v[6:7], v[46:47], v[122:123]
	v_mul_f64 v[30:31], v[42:43], v[118:119]
	v_mul_f64 v[42:43], v[42:43], v[116:117]
	v_mul_f64 v[46:47], v[14:15], v[94:95]
	v_mul_f64 v[14:15], v[14:15], v[92:93]
	v_fma_f64 v[88:89], v[24:25], v[88:89], v[128:129]
	v_fma_f64 v[24:25], v[24:25], v[90:91], -v[26:27]
	s_mov_b32 s37, 0xbfeeb42a
	v_fma_f64 v[4:5], v[44:45], v[122:123], -v[126:127]
	v_mul_f64 v[122:123], v[22:23], v[102:103]
	v_mul_f64 v[22:23], v[22:23], v[100:101]
	;; [unrolled: 1-line block ×4, first 2 shown]
	s_mov_b32 s0, s2
	s_mov_b32 s27, 0x3fefac9e
	;; [unrolled: 1-line block ×7, first 2 shown]
	v_add_f64 v[26:27], v[0:1], v[124:125]
	v_add_f64 v[90:91], v[2:3], v[28:29]
	v_fma_f64 v[6:7], v[44:45], v[120:121], v[6:7]
	v_fma_f64 v[30:31], v[40:41], v[116:117], v[30:31]
	v_fma_f64 v[40:41], v[40:41], v[118:119], -v[42:43]
	v_fma_f64 v[42:43], v[12:13], v[92:93], v[46:47]
	v_fma_f64 v[12:13], v[12:13], v[94:95], -v[14:15]
	;; [unrolled: 2-line block ×6, first 2 shown]
	v_add_f64 v[34:35], v[28:29], -v[4:5]
	v_add_f64 v[28:29], v[28:29], v[4:5]
	v_fma_f64 v[22:23], v[16:17], v[104:105], v[126:127]
	v_fma_f64 v[16:17], v[16:17], v[106:107], -v[18:19]
	s_mov_b32 s16, s10
	s_mov_b32 s34, s24
	v_add_f64 v[26:27], v[26:27], v[88:89]
	v_add_f64 v[46:47], v[90:91], v[24:25]
	v_add_f64 v[90:91], v[124:125], -v[6:7]
	v_add_f64 v[18:19], v[124:125], v[6:7]
	v_add_f64 v[94:95], v[24:25], -v[40:41]
	v_add_f64 v[24:25], v[24:25], v[40:41]
	v_add_f64 v[92:93], v[88:89], v[30:31]
	;; [unrolled: 1-line block ×4, first 2 shown]
	v_add_f64 v[102:103], v[12:13], -v[36:37]
	v_add_f64 v[100:101], v[42:43], -v[14:15]
	;; [unrolled: 1-line block ×3, first 2 shown]
	v_add_f64 v[106:107], v[8:9], v[32:33]
	v_add_f64 v[108:109], v[8:9], -v[32:33]
	v_add_f64 v[104:105], v[38:39], v[10:11]
	v_mul_f64 v[110:111], v[34:35], s[2:3]
	v_mul_f64 v[112:113], v[28:29], s[8:9]
	;; [unrolled: 1-line block ×6, first 2 shown]
	s_barrier
	v_add_f64 v[26:27], v[26:27], v[42:43]
	v_add_f64 v[12:13], v[46:47], v[12:13]
	v_mul_f64 v[42:43], v[34:35], s[20:21]
	v_mul_f64 v[46:47], v[28:29], s[22:23]
	;; [unrolled: 1-line block ×13, first 2 shown]
	v_fma_f64 v[153:154], v[18:19], s[8:9], v[110:111]
	v_fma_f64 v[155:156], v[90:91], s[0:1], v[112:113]
	v_mul_f64 v[24:25], v[24:25], s[8:9]
	v_mul_f64 v[141:142], v[98:99], s[22:23]
	v_fma_f64 v[110:111], v[18:19], s[8:9], -v[110:111]
	v_fma_f64 v[112:113], v[90:91], s[2:3], v[112:113]
	v_fma_f64 v[157:158], v[18:19], s[18:19], v[114:115]
	v_add_f64 v[26:27], v[26:27], v[38:39]
	v_add_f64 v[8:9], v[12:13], v[8:9]
	v_fma_f64 v[161:162], v[18:19], s[22:23], v[42:43]
	v_fma_f64 v[163:164], v[90:91], s[26:27], v[46:47]
	v_fma_f64 v[42:43], v[18:19], s[22:23], -v[42:43]
	v_fma_f64 v[46:47], v[90:91], s[20:21], v[46:47]
	v_fma_f64 v[159:160], v[90:91], s[16:17], v[116:117]
	v_fma_f64 v[116:117], v[90:91], s[10:11], v[116:117]
	v_fma_f64 v[165:166], v[18:19], s[28:29], v[118:119]
	v_fma_f64 v[167:168], v[90:91], s[34:35], v[120:121]
	v_fma_f64 v[120:121], v[90:91], s[24:25], v[120:121]
	v_fma_f64 v[169:170], v[18:19], s[36:37], v[34:35]
	v_fma_f64 v[171:172], v[90:91], s[38:39], v[28:29]
	v_fma_f64 v[28:29], v[90:91], s[30:31], v[28:29]
	v_fma_f64 v[90:91], v[88:89], s[16:17], v[124:125]
	v_mul_f64 v[139:140], v[102:103], s[20:21]
	v_add_f64 v[155:156], v[2:3], v[155:156]
	v_fma_f64 v[114:115], v[18:19], s[18:19], -v[114:115]
	v_fma_f64 v[118:119], v[18:19], s[28:29], -v[118:119]
	;; [unrolled: 1-line block ×3, first 2 shown]
	v_fma_f64 v[34:35], v[92:93], s[18:19], v[122:123]
	v_add_f64 v[153:154], v[0:1], v[153:154]
	v_add_f64 v[26:27], v[26:27], v[44:45]
	;; [unrolled: 1-line block ×3, first 2 shown]
	v_mul_f64 v[12:13], v[102:103], s[16:17]
	v_mul_f64 v[147:148], v[98:99], s[18:19]
	v_fma_f64 v[177:178], v[92:93], s[36:37], v[130:131]
	v_fma_f64 v[183:184], v[88:89], s[30:31], v[133:134]
	v_fma_f64 v[130:131], v[92:93], s[36:37], -v[130:131]
	v_fma_f64 v[133:134], v[88:89], s[38:39], v[133:134]
	v_add_f64 v[42:43], v[0:1], v[42:43]
	v_add_f64 v[46:47], v[2:3], v[46:47]
	v_mul_f64 v[149:150], v[102:103], s[2:3]
	v_fma_f64 v[122:123], v[92:93], s[18:19], -v[122:123]
	v_fma_f64 v[124:125], v[88:89], s[10:11], v[124:125]
	v_fma_f64 v[173:174], v[92:93], s[28:29], v[126:127]
	;; [unrolled: 1-line block ×3, first 2 shown]
	v_fma_f64 v[126:127], v[92:93], s[28:29], -v[126:127]
	v_fma_f64 v[128:129], v[88:89], s[24:25], v[128:129]
	v_fma_f64 v[185:186], v[92:93], s[22:23], v[135:136]
	v_fma_f64 v[135:136], v[92:93], s[22:23], -v[135:136]
	v_fma_f64 v[189:190], v[92:93], s[8:9], v[94:95]
	v_fma_f64 v[191:192], v[88:89], s[2:3], v[24:25]
	v_fma_f64 v[92:93], v[92:93], s[8:9], -v[94:95]
	v_add_f64 v[26:27], v[26:27], v[22:23]
	v_add_f64 v[8:9], v[8:9], v[16:17]
	v_fma_f64 v[24:25], v[88:89], s[0:1], v[24:25]
	v_fma_f64 v[94:95], v[100:101], s[26:27], v[141:142]
	v_add_f64 v[116:117], v[2:3], v[116:117]
	v_add_f64 v[120:121], v[2:3], v[120:121]
	v_mul_f64 v[143:144], v[102:103], s[38:39]
	v_mul_f64 v[151:152], v[98:99], s[8:9]
	v_fma_f64 v[187:188], v[88:89], s[20:21], v[137:138]
	v_fma_f64 v[137:138], v[88:89], s[26:27], v[137:138]
	;; [unrolled: 1-line block ×3, first 2 shown]
	v_add_f64 v[114:115], v[0:1], v[114:115]
	v_add_f64 v[118:119], v[0:1], v[118:119]
	v_mul_f64 v[145:146], v[98:99], s[36:37]
	v_mul_f64 v[102:103], v[102:103], s[24:25]
	v_fma_f64 v[197:198], v[96:97], s[18:19], v[12:13]
	v_fma_f64 v[199:200], v[100:101], s[10:11], v[147:148]
	v_fma_f64 v[12:13], v[96:97], s[18:19], -v[12:13]
	v_fma_f64 v[147:148], v[100:101], s[16:17], v[147:148]
	v_add_f64 v[42:43], v[130:131], v[42:43]
	v_add_f64 v[46:47], v[133:134], v[46:47]
	v_mul_f64 v[98:99], v[98:99], s[28:29]
	v_add_f64 v[26:27], v[26:27], v[10:11]
	v_add_f64 v[8:9], v[8:9], v[32:33]
	;; [unrolled: 1-line block ×16, first 2 shown]
	v_fma_f64 v[139:140], v[96:97], s[22:23], -v[139:140]
	v_add_f64 v[10:11], v[38:39], -v[10:11]
	v_fma_f64 v[38:39], v[96:97], s[8:9], v[149:150]
	v_fma_f64 v[141:142], v[100:101], s[20:21], v[141:142]
	;; [unrolled: 1-line block ×4, first 2 shown]
	v_add_f64 v[14:15], v[26:27], v[14:15]
	v_add_f64 v[8:9], v[8:9], v[36:37]
	;; [unrolled: 1-line block ×6, first 2 shown]
	v_fma_f64 v[143:144], v[96:97], s[36:37], -v[143:144]
	v_add_f64 v[36:37], v[175:176], v[157:158]
	v_add_f64 v[116:117], v[185:186], v[163:164]
	;; [unrolled: 1-line block ×4, first 2 shown]
	v_fma_f64 v[145:146], v[100:101], s[38:39], v[145:146]
	v_add_f64 v[2:3], v[24:25], v[2:3]
	v_add_f64 v[24:25], v[94:95], v[28:29]
	v_mul_f64 v[28:29], v[108:109], s[24:25]
	v_add_f64 v[18:19], v[88:89], v[18:19]
	v_mul_f64 v[88:89], v[108:109], s[26:27]
	;; [unrolled: 2-line block ×3, first 2 shown]
	v_add_f64 v[118:119], v[135:136], v[118:119]
	v_add_f64 v[120:121], v[137:138], v[120:121]
	v_fma_f64 v[94:95], v[96:97], s[8:9], -v[149:150]
	v_add_f64 v[14:15], v[14:15], v[30:31]
	v_add_f64 v[8:9], v[8:9], v[40:41]
	v_mul_f64 v[30:31], v[106:107], s[28:29]
	v_fma_f64 v[40:41], v[100:101], s[0:1], v[151:152]
	v_fma_f64 v[128:129], v[100:101], s[2:3], v[151:152]
	v_add_f64 v[12:13], v[12:13], v[42:43]
	v_add_f64 v[42:43], v[147:148], v[46:47]
	v_fma_f64 v[46:47], v[96:97], s[28:29], -v[102:103]
	v_add_f64 v[112:113], v[177:178], v[159:160]
	v_fma_f64 v[130:131], v[96:97], s[28:29], v[102:103]
	v_mul_f64 v[102:103], v[108:109], s[2:3]
	v_add_f64 v[114:115], v[183:184], v[161:162]
	v_add_f64 v[26:27], v[139:140], v[26:27]
	v_fma_f64 v[133:134], v[100:101], s[34:35], v[98:99]
	v_fma_f64 v[96:97], v[100:101], s[24:25], v[98:99]
	;; [unrolled: 1-line block ×3, first 2 shown]
	v_add_f64 v[38:39], v[38:39], v[116:117]
	v_fma_f64 v[28:29], v[104:105], s[28:29], -v[28:29]
	v_mul_f64 v[116:117], v[106:107], s[8:9]
	v_add_f64 v[32:33], v[141:142], v[32:33]
	v_add_f64 v[34:35], v[193:194], v[34:35]
	;; [unrolled: 1-line block ×4, first 2 shown]
	v_fma_f64 v[135:136], v[10:11], s[20:21], v[92:93]
	v_fma_f64 v[100:101], v[10:11], s[34:35], v[30:31]
	v_add_f64 v[40:41], v[40:41], v[122:123]
	v_fma_f64 v[30:31], v[10:11], s[24:25], v[30:31]
	v_fma_f64 v[122:123], v[104:105], s[22:23], v[88:89]
	v_fma_f64 v[88:89], v[104:105], s[22:23], -v[88:89]
	v_add_f64 v[110:111], v[145:146], v[110:111]
	v_add_f64 v[94:95], v[94:95], v[118:119]
	v_fma_f64 v[92:93], v[10:11], s[26:27], v[92:93]
	v_add_f64 v[118:119], v[128:129], v[120:121]
	v_mul_f64 v[120:121], v[108:109], s[30:31]
	v_mul_f64 v[128:129], v[106:107], s[36:37]
	;; [unrolled: 1-line block ×4, first 2 shown]
	v_add_f64 v[0:1], v[46:47], v[0:1]
	v_add_f64 v[46:47], v[20:21], -v[16:17]
	v_add_f64 v[16:17], v[20:21], v[16:17]
	v_add_f64 v[124:125], v[189:190], v[167:168]
	;; [unrolled: 1-line block ×4, first 2 shown]
	v_fma_f64 v[20:21], v[104:105], s[8:9], v[102:103]
	v_add_f64 v[114:115], v[199:200], v[114:115]
	v_add_f64 v[26:27], v[28:29], v[26:27]
	v_fma_f64 v[28:29], v[10:11], s[0:1], v[116:117]
	v_add_f64 v[2:3], v[96:97], v[2:3]
	v_add_f64 v[96:97], v[30:31], v[32:33]
	;; [unrolled: 1-line block ×3, first 2 shown]
	v_fma_f64 v[34:35], v[104:105], s[8:9], -v[102:103]
	v_add_f64 v[32:33], v[135:136], v[36:37]
	v_add_f64 v[36:37], v[88:89], v[90:91]
	v_fma_f64 v[90:91], v[10:11], s[2:3], v[116:117]
	v_add_f64 v[18:19], v[98:99], v[18:19]
	v_add_f64 v[24:25], v[100:101], v[24:25]
	;; [unrolled: 1-line block ×3, first 2 shown]
	v_fma_f64 v[92:93], v[104:105], s[36:37], v[120:121]
	v_fma_f64 v[98:99], v[10:11], s[38:39], v[128:129]
	v_fma_f64 v[100:101], v[104:105], s[36:37], -v[120:121]
	v_fma_f64 v[102:103], v[10:11], s[30:31], v[128:129]
	v_fma_f64 v[110:111], v[104:105], s[18:19], v[108:109]
	;; [unrolled: 1-line block ×3, first 2 shown]
	v_fma_f64 v[104:105], v[104:105], s[18:19], -v[108:109]
	v_fma_f64 v[10:11], v[10:11], s[16:17], v[106:107]
	v_add_f64 v[106:107], v[44:45], v[22:23]
	v_add_f64 v[22:23], v[44:45], -v[22:23]
	v_mul_f64 v[44:45], v[46:47], s[30:31]
	v_mul_f64 v[108:109], v[16:17], s[36:37]
	v_add_f64 v[124:125], v[130:131], v[124:125]
	v_add_f64 v[126:127], v[133:134], v[126:127]
	v_add_f64 v[20:21], v[20:21], v[112:113]
	v_mul_f64 v[112:113], v[46:47], s[0:1]
	v_mul_f64 v[120:121], v[16:17], s[8:9]
	v_add_f64 v[28:29], v[28:29], v[114:115]
	v_mul_f64 v[114:115], v[46:47], s[24:25]
	v_mul_f64 v[122:123], v[16:17], s[28:29]
	v_add_f64 v[34:35], v[34:35], v[12:13]
	;; [unrolled: 3-line block ×4, first 2 shown]
	v_add_f64 v[46:47], v[100:101], v[94:95]
	v_add_f64 v[92:93], v[102:103], v[118:119]
	;; [unrolled: 1-line block ×5, first 2 shown]
	v_fma_f64 v[102:103], v[106:107], s[36:37], v[44:45]
	v_fma_f64 v[104:105], v[22:23], s[38:39], v[108:109]
	v_add_f64 v[94:95], v[110:111], v[124:125]
	v_add_f64 v[98:99], v[116:117], v[126:127]
	v_fma_f64 v[44:45], v[106:107], s[36:37], -v[44:45]
	v_fma_f64 v[110:111], v[106:107], s[8:9], v[112:113]
	v_fma_f64 v[116:117], v[22:23], s[2:3], v[120:121]
	v_fma_f64 v[112:113], v[106:107], s[8:9], -v[112:113]
	v_fma_f64 v[118:119], v[106:107], s[28:29], v[114:115]
	v_fma_f64 v[124:125], v[22:23], s[34:35], v[122:123]
	;; [unrolled: 3-line block ×5, first 2 shown]
	v_fma_f64 v[122:123], v[22:23], s[24:25], v[122:123]
	v_fma_f64 v[120:121], v[22:23], s[0:1], v[120:121]
	;; [unrolled: 1-line block ×3, first 2 shown]
	v_add_f64 v[0:1], v[14:15], v[6:7]
	v_add_f64 v[2:3], v[8:9], v[4:5]
	;; [unrolled: 1-line block ×22, first 2 shown]
	buffer_gl0_inv
	ds_write_b128 v182, v[0:3]
	ds_write_b128 v182, v[4:7] offset:208
	ds_write_b128 v182, v[12:15] offset:416
	;; [unrolled: 1-line block ×10, first 2 shown]
	s_waitcnt lgkmcnt(0)
	s_barrier
	buffer_gl0_inv
	ds_read_b128 v[0:3], v179 offset:2288
	ds_read_b128 v[4:7], v179 offset:4576
	ds_read_b128 v[8:11], v179 offset:6864
	s_waitcnt lgkmcnt(2)
	v_mul_f64 v[12:13], v[54:55], v[2:3]
	v_mul_f64 v[16:17], v[54:55], v[0:1]
	s_waitcnt lgkmcnt(1)
	v_mul_f64 v[18:19], v[86:87], v[6:7]
	v_mul_f64 v[20:21], v[86:87], v[4:5]
	v_fma_f64 v[32:33], v[52:53], v[0:1], v[12:13]
	ds_read_b128 v[12:15], v179
	v_fma_f64 v[34:35], v[52:53], v[2:3], -v[16:17]
	v_fma_f64 v[36:37], v[84:85], v[4:5], v[18:19]
	s_waitcnt lgkmcnt(1)
	v_mul_f64 v[16:17], v[78:79], v[10:11]
	v_mul_f64 v[18:19], v[78:79], v[8:9]
	v_fma_f64 v[38:39], v[84:85], v[6:7], -v[20:21]
	ds_read_b128 v[0:3], v179 offset:9152
	ds_read_b128 v[4:7], v179 offset:11440
	s_waitcnt lgkmcnt(2)
	v_add_f64 v[20:21], v[12:13], v[32:33]
	v_add_f64 v[22:23], v[14:15], v[34:35]
	v_fma_f64 v[40:41], v[76:77], v[8:9], v[16:17]
	v_fma_f64 v[42:43], v[76:77], v[10:11], -v[18:19]
	s_waitcnt lgkmcnt(1)
	v_mul_f64 v[24:25], v[50:51], v[2:3]
	v_mul_f64 v[26:27], v[50:51], v[0:1]
	ds_read_b128 v[8:11], v179 offset:22880
	ds_read_b128 v[16:19], v179 offset:20592
	s_waitcnt lgkmcnt(2)
	v_mul_f64 v[44:45], v[74:75], v[6:7]
	v_mul_f64 v[46:47], v[74:75], v[4:5]
	v_add_f64 v[28:29], v[20:21], v[36:37]
	v_add_f64 v[30:31], v[22:23], v[38:39]
	ds_read_b128 v[20:23], v179 offset:13728
	s_waitcnt lgkmcnt(2)
	v_mul_f64 v[52:53], v[82:83], v[8:9]
	v_fma_f64 v[50:51], v[48:49], v[0:1], v[24:25]
	v_fma_f64 v[48:49], v[48:49], v[2:3], -v[26:27]
	s_waitcnt lgkmcnt(1)
	v_mul_f64 v[54:55], v[66:67], v[16:17]
	v_fma_f64 v[4:5], v[72:73], v[4:5], v[44:45]
	v_fma_f64 v[6:7], v[72:73], v[6:7], -v[46:47]
	v_mul_f64 v[44:45], v[82:83], v[10:11]
	v_add_f64 v[0:1], v[28:29], v[40:41]
	s_waitcnt lgkmcnt(0)
	v_mul_f64 v[74:75], v[70:71], v[22:23]
	v_add_f64 v[2:3], v[30:31], v[42:43]
	v_mul_f64 v[46:47], v[70:71], v[20:21]
	ds_read_b128 v[24:27], v179 offset:18304
	ds_read_b128 v[28:31], v179 offset:16016
	v_add_f64 v[70:71], v[0:1], v[50:51]
	v_fma_f64 v[0:1], v[80:81], v[10:11], -v[52:53]
	v_add_f64 v[72:73], v[2:3], v[48:49]
	v_mul_f64 v[10:11], v[66:67], v[18:19]
	s_waitcnt lgkmcnt(1)
	v_mul_f64 v[52:53], v[62:63], v[24:25]
	v_fma_f64 v[18:19], v[64:65], v[18:19], -v[54:55]
	v_fma_f64 v[20:21], v[68:69], v[20:21], v[74:75]
	s_waitcnt lgkmcnt(0)
	v_mul_f64 v[54:55], v[58:59], v[30:31]
	v_mul_f64 v[58:59], v[58:59], v[28:29]
	v_fma_f64 v[2:3], v[80:81], v[8:9], v[44:45]
	v_fma_f64 v[8:9], v[68:69], v[22:23], -v[46:47]
	v_mul_f64 v[62:63], v[62:63], v[26:27]
	v_add_f64 v[22:23], v[70:71], v[4:5]
	v_add_f64 v[46:47], v[34:35], -v[0:1]
	v_add_f64 v[44:45], v[72:73], v[6:7]
	v_add_f64 v[34:35], v[34:35], v[0:1]
	v_fma_f64 v[10:11], v[64:65], v[16:17], v[10:11]
	v_fma_f64 v[16:17], v[60:61], v[26:27], -v[52:53]
	v_add_f64 v[26:27], v[38:39], -v[18:19]
	v_add_f64 v[38:39], v[38:39], v[18:19]
	v_fma_f64 v[28:29], v[56:57], v[28:29], v[54:55]
	v_fma_f64 v[30:31], v[56:57], v[30:31], -v[58:59]
	v_add_f64 v[52:53], v[32:33], v[2:3]
	v_add_f64 v[32:33], v[32:33], -v[2:3]
	v_fma_f64 v[24:25], v[60:61], v[24:25], v[62:63]
	v_add_f64 v[22:23], v[22:23], v[20:21]
	v_mul_f64 v[54:55], v[46:47], s[2:3]
	v_add_f64 v[44:45], v[44:45], v[8:9]
	v_mul_f64 v[56:57], v[34:35], s[8:9]
	;; [unrolled: 2-line block ×3, first 2 shown]
	v_mul_f64 v[62:63], v[34:35], s[18:19]
	v_add_f64 v[36:37], v[36:37], -v[10:11]
	v_mul_f64 v[66:67], v[46:47], s[20:21]
	v_mul_f64 v[68:69], v[34:35], s[22:23]
	;; [unrolled: 1-line block ×8, first 2 shown]
	v_add_f64 v[64:65], v[42:43], -v[16:17]
	v_mul_f64 v[78:79], v[26:27], s[24:25]
	v_mul_f64 v[80:81], v[38:39], s[28:29]
	v_mul_f64 v[82:83], v[26:27], s[38:39]
	v_mul_f64 v[84:85], v[38:39], s[36:37]
	v_add_f64 v[22:23], v[22:23], v[28:29]
	v_fma_f64 v[86:87], v[52:53], s[8:9], v[54:55]
	v_add_f64 v[44:45], v[44:45], v[30:31]
	v_fma_f64 v[88:89], v[32:33], s[0:1], v[56:57]
	v_fma_f64 v[54:55], v[52:53], s[8:9], -v[54:55]
	v_fma_f64 v[56:57], v[32:33], s[2:3], v[56:57]
	v_fma_f64 v[90:91], v[52:53], s[18:19], v[60:61]
	v_fma_f64 v[92:93], v[32:33], s[16:17], v[62:63]
	v_fma_f64 v[60:61], v[52:53], s[18:19], -v[60:61]
	v_fma_f64 v[62:63], v[32:33], s[10:11], v[62:63]
	v_fma_f64 v[94:95], v[52:53], s[22:23], v[66:67]
	;; [unrolled: 4-line block ×4, first 2 shown]
	v_fma_f64 v[104:105], v[32:33], s[38:39], v[34:35]
	v_fma_f64 v[46:47], v[52:53], s[36:37], -v[46:47]
	v_fma_f64 v[32:33], v[32:33], s[30:31], v[34:35]
	v_add_f64 v[22:23], v[22:23], v[24:25]
	v_fma_f64 v[52:53], v[36:37], s[16:17], v[76:77]
	v_add_f64 v[34:35], v[44:45], v[16:17]
	;; [unrolled: 2-line block ×3, first 2 shown]
	v_add_f64 v[88:89], v[14:15], v[88:89]
	v_add_f64 v[16:17], v[42:43], v[16:17]
	;; [unrolled: 1-line block ×20, first 2 shown]
	v_fma_f64 v[22:23], v[58:59], s[18:19], -v[74:75]
	v_fma_f64 v[34:35], v[36:37], s[10:11], v[76:77]
	v_mul_f64 v[42:43], v[26:27], s[26:27]
	v_mul_f64 v[74:75], v[38:39], s[22:23]
	v_add_f64 v[12:13], v[12:13], v[46:47]
	v_add_f64 v[14:15], v[14:15], v[32:33]
	v_mul_f64 v[26:27], v[26:27], s[0:1]
	v_mul_f64 v[32:33], v[38:39], s[8:9]
	v_fma_f64 v[38:39], v[58:59], s[28:29], v[78:79]
	v_fma_f64 v[46:47], v[36:37], s[34:35], v[80:81]
	v_fma_f64 v[76:77], v[58:59], s[28:29], -v[78:79]
	v_fma_f64 v[78:79], v[36:37], s[24:25], v[80:81]
	v_fma_f64 v[80:81], v[58:59], s[36:37], v[82:83]
	;; [unrolled: 1-line block ×3, first 2 shown]
	v_add_f64 v[44:45], v[44:45], v[86:87]
	v_add_f64 v[52:53], v[52:53], v[88:89]
	v_fma_f64 v[82:83], v[58:59], s[36:37], -v[82:83]
	v_add_f64 v[86:87], v[40:41], v[24:25]
	v_mul_f64 v[88:89], v[64:65], s[20:21]
	v_fma_f64 v[84:85], v[36:37], s[38:39], v[84:85]
	v_add_f64 v[24:25], v[40:41], -v[24:25]
	v_mul_f64 v[40:41], v[16:17], s[22:23]
	v_add_f64 v[22:23], v[22:23], v[54:55]
	v_add_f64 v[34:35], v[34:35], v[56:57]
	v_fma_f64 v[54:55], v[58:59], s[22:23], v[42:43]
	v_fma_f64 v[56:57], v[36:37], s[20:21], v[74:75]
	v_fma_f64 v[42:43], v[58:59], s[22:23], -v[42:43]
	v_fma_f64 v[74:75], v[36:37], s[26:27], v[74:75]
	v_fma_f64 v[108:109], v[58:59], s[8:9], v[26:27]
	;; [unrolled: 1-line block ×3, first 2 shown]
	v_add_f64 v[38:39], v[38:39], v[90:91]
	v_add_f64 v[46:47], v[46:47], v[92:93]
	;; [unrolled: 1-line block ×3, first 2 shown]
	v_mul_f64 v[90:91], v[16:17], s[36:37]
	v_add_f64 v[76:77], v[80:81], v[94:95]
	v_mul_f64 v[80:81], v[64:65], s[38:39]
	v_fma_f64 v[26:27], v[58:59], s[8:9], -v[26:27]
	v_fma_f64 v[32:33], v[36:37], s[0:1], v[32:33]
	v_add_f64 v[58:59], v[82:83], v[66:67]
	v_mul_f64 v[82:83], v[64:65], s[16:17]
	v_fma_f64 v[36:37], v[86:87], s[22:23], v[88:89]
	v_add_f64 v[66:67], v[84:85], v[68:69]
	v_mul_f64 v[84:85], v[16:17], s[18:19]
	v_fma_f64 v[68:69], v[24:25], s[26:27], v[40:41]
	v_add_f64 v[92:93], v[48:49], -v[30:31]
	v_add_f64 v[30:31], v[48:49], v[30:31]
	v_add_f64 v[62:63], v[78:79], v[62:63]
	;; [unrolled: 1-line block ×4, first 2 shown]
	v_mul_f64 v[48:49], v[64:65], s[2:3]
	v_mul_f64 v[94:95], v[16:17], s[8:9]
	v_fma_f64 v[88:89], v[86:87], s[22:23], -v[88:89]
	v_fma_f64 v[40:41], v[24:25], s[20:21], v[40:41]
	v_mul_f64 v[16:17], v[16:17], s[28:29]
	v_mul_f64 v[64:65], v[64:65], s[24:25]
	v_fma_f64 v[98:99], v[24:25], s[30:31], v[90:91]
	v_add_f64 v[56:57], v[56:57], v[100:101]
	v_fma_f64 v[96:97], v[86:87], s[36:37], v[80:81]
	v_add_f64 v[12:13], v[26:27], v[12:13]
	v_add_f64 v[14:15], v[32:33], v[14:15]
	v_fma_f64 v[32:33], v[86:87], s[36:37], -v[80:81]
	v_fma_f64 v[80:81], v[86:87], s[18:19], -v[82:83]
	v_add_f64 v[26:27], v[36:37], v[44:45]
	v_fma_f64 v[36:37], v[24:25], s[38:39], v[90:91]
	v_add_f64 v[42:43], v[42:43], v[70:71]
	v_add_f64 v[44:45], v[68:69], v[52:53]
	v_fma_f64 v[52:53], v[86:87], s[18:19], v[82:83]
	v_fma_f64 v[68:69], v[24:25], s[10:11], v[84:85]
	;; [unrolled: 1-line block ×3, first 2 shown]
	v_add_f64 v[84:85], v[50:51], v[28:29]
	v_add_f64 v[28:29], v[50:51], -v[28:29]
	v_mul_f64 v[50:51], v[92:93], s[24:25]
	v_mul_f64 v[90:91], v[30:31], s[28:29]
	v_add_f64 v[70:71], v[74:75], v[72:73]
	v_add_f64 v[72:73], v[108:109], v[102:103]
	v_fma_f64 v[100:101], v[86:87], s[8:9], v[48:49]
	v_fma_f64 v[102:103], v[24:25], s[0:1], v[94:95]
	v_add_f64 v[22:23], v[88:89], v[22:23]
	v_add_f64 v[34:35], v[40:41], v[34:35]
	;; [unrolled: 1-line block ×3, first 2 shown]
	v_mul_f64 v[46:47], v[92:93], s[26:27]
	v_mul_f64 v[88:89], v[30:31], s[22:23]
	v_fma_f64 v[48:49], v[86:87], s[8:9], -v[48:49]
	v_add_f64 v[32:33], v[32:33], v[60:61]
	v_fma_f64 v[60:61], v[24:25], s[2:3], v[94:95]
	v_add_f64 v[74:75], v[110:111], v[104:105]
	v_add_f64 v[36:37], v[36:37], v[62:63]
	;; [unrolled: 1-line block ×4, first 2 shown]
	v_fma_f64 v[76:77], v[24:25], s[34:35], v[16:17]
	v_fma_f64 v[16:17], v[24:25], s[24:25], v[16:17]
	v_add_f64 v[62:63], v[68:69], v[78:79]
	v_fma_f64 v[68:69], v[86:87], s[28:29], v[64:65]
	v_fma_f64 v[24:25], v[84:85], s[28:29], v[50:51]
	v_mul_f64 v[80:81], v[92:93], s[2:3]
	v_add_f64 v[66:67], v[82:83], v[66:67]
	v_fma_f64 v[64:65], v[86:87], s[28:29], -v[64:65]
	v_fma_f64 v[50:51], v[84:85], s[28:29], -v[50:51]
	v_fma_f64 v[82:83], v[28:29], s[24:25], v[90:91]
	v_mul_f64 v[86:87], v[30:31], s[8:9]
	v_fma_f64 v[78:79], v[28:29], s[34:35], v[90:91]
	v_add_f64 v[54:55], v[100:101], v[54:55]
	v_fma_f64 v[90:91], v[84:85], s[22:23], v[46:47]
	v_fma_f64 v[94:95], v[28:29], s[20:21], v[88:89]
	v_add_f64 v[42:43], v[48:49], v[42:43]
	v_fma_f64 v[46:47], v[84:85], s[22:23], -v[46:47]
	v_fma_f64 v[48:49], v[28:29], s[26:27], v[88:89]
	v_add_f64 v[60:61], v[60:61], v[70:71]
	v_mul_f64 v[70:71], v[92:93], s[30:31]
	v_mul_f64 v[88:89], v[30:31], s[36:37]
	;; [unrolled: 1-line block ×3, first 2 shown]
	v_add_f64 v[56:57], v[102:103], v[56:57]
	v_add_f64 v[14:15], v[16:17], v[14:15]
	;; [unrolled: 1-line block ×5, first 2 shown]
	v_add_f64 v[26:27], v[6:7], -v[8:9]
	v_add_f64 v[6:7], v[6:7], v[8:9]
	v_add_f64 v[72:73], v[76:77], v[74:75]
	v_mul_f64 v[74:75], v[92:93], s[16:17]
	v_fma_f64 v[8:9], v[84:85], s[8:9], v[80:81]
	v_add_f64 v[22:23], v[50:51], v[22:23]
	v_add_f64 v[50:51], v[82:83], v[34:35]
	v_fma_f64 v[34:35], v[28:29], s[0:1], v[86:87]
	v_add_f64 v[24:25], v[78:79], v[44:45]
	v_fma_f64 v[44:45], v[84:85], s[8:9], -v[80:81]
	v_add_f64 v[12:13], v[64:65], v[12:13]
	v_add_f64 v[32:33], v[46:47], v[32:33]
	;; [unrolled: 1-line block ×3, first 2 shown]
	v_fma_f64 v[36:37], v[28:29], s[2:3], v[86:87]
	v_fma_f64 v[48:49], v[84:85], s[36:37], v[70:71]
	;; [unrolled: 1-line block ×6, first 2 shown]
	v_add_f64 v[30:31], v[4:5], v[20:21]
	v_add_f64 v[4:5], v[4:5], -v[20:21]
	v_fma_f64 v[70:71], v[84:85], s[36:37], -v[70:71]
	v_mul_f64 v[20:21], v[26:27], s[30:31]
	v_mul_f64 v[82:83], v[6:7], s[36:37]
	;; [unrolled: 1-line block ×3, first 2 shown]
	v_fma_f64 v[78:79], v[84:85], s[18:19], v[74:75]
	v_fma_f64 v[74:75], v[84:85], s[18:19], -v[74:75]
	v_add_f64 v[52:53], v[8:9], v[52:53]
	v_mul_f64 v[8:9], v[26:27], s[0:1]
	v_mul_f64 v[84:85], v[6:7], s[8:9]
	v_add_f64 v[34:35], v[34:35], v[62:63]
	v_mul_f64 v[62:63], v[26:27], s[24:25]
	v_add_f64 v[44:45], v[44:45], v[58:59]
	v_mul_f64 v[58:59], v[26:27], s[16:17]
	v_mul_f64 v[88:89], v[6:7], s[18:19]
	;; [unrolled: 1-line block ×4, first 2 shown]
	v_add_f64 v[66:67], v[36:37], v[66:67]
	v_add_f64 v[36:37], v[48:49], v[54:55]
	;; [unrolled: 1-line block ×7, first 2 shown]
	v_fma_f64 v[14:15], v[30:31], s[36:37], v[20:21]
	v_fma_f64 v[64:65], v[4:5], s[38:39], v[82:83]
	v_add_f64 v[54:55], v[76:77], v[60:61]
	v_add_f64 v[56:57], v[78:79], v[68:69]
	;; [unrolled: 1-line block ×3, first 2 shown]
	v_fma_f64 v[20:21], v[30:31], s[36:37], -v[20:21]
	v_fma_f64 v[68:69], v[30:31], s[8:9], v[8:9]
	v_fma_f64 v[70:71], v[4:5], s[2:3], v[84:85]
	;; [unrolled: 1-line block ×4, first 2 shown]
	v_add_f64 v[60:61], v[80:81], v[72:73]
	v_fma_f64 v[72:73], v[30:31], s[8:9], -v[8:9]
	v_fma_f64 v[78:79], v[30:31], s[18:19], v[58:59]
	v_fma_f64 v[80:81], v[4:5], s[10:11], v[88:89]
	;; [unrolled: 1-line block ×4, first 2 shown]
	v_fma_f64 v[62:63], v[30:31], s[28:29], -v[62:63]
	v_fma_f64 v[58:59], v[30:31], s[18:19], -v[58:59]
	;; [unrolled: 1-line block ×3, first 2 shown]
	v_fma_f64 v[96:97], v[4:5], s[20:21], v[6:7]
	v_fma_f64 v[88:89], v[4:5], s[16:17], v[88:89]
	v_fma_f64 v[86:87], v[4:5], s[24:25], v[86:87]
	v_fma_f64 v[84:85], v[4:5], s[0:1], v[84:85]
	v_fma_f64 v[82:83], v[4:5], s[30:31], v[82:83]
	v_add_f64 v[2:3], v[10:11], v[2:3]
	v_add_f64 v[4:5], v[18:19], v[0:1]
	;; [unrolled: 1-line block ×22, first 2 shown]
	ds_write_b128 v179, v[2:5]
	ds_write_b128 v179, v[6:9] offset:2288
	ds_write_b128 v179, v[14:17] offset:4576
	;; [unrolled: 1-line block ×10, first 2 shown]
	s_waitcnt lgkmcnt(0)
	s_barrier
	buffer_gl0_inv
	s_and_b32 exec_lo, exec_lo, vcc_lo
	s_cbranch_execz .LBB0_15
; %bb.14:
	v_add_co_u32 v0, s0, s14, v179
	v_add_co_ci_u32_e64 v1, null, s15, 0, s0
	v_mad_u64_u32 v[50:51], null, s6, v132, 0
	v_add_co_u32 v10, vcc_lo, 0x800, v0
	v_add_co_ci_u32_e32 v11, vcc_lo, 0, v1, vcc_lo
	v_add_co_u32 v14, vcc_lo, 0x1000, v0
	v_add_co_ci_u32_e32 v15, vcc_lo, 0, v1, vcc_lo
	v_add_co_u32 v18, vcc_lo, 0x1800, v0
	v_add_co_ci_u32_e32 v19, vcc_lo, 0, v1, vcc_lo
	v_add_co_u32 v22, vcc_lo, 0x2000, v0
	v_add_co_ci_u32_e32 v23, vcc_lo, 0, v1, vcc_lo
	v_add_co_u32 v26, vcc_lo, 0x2800, v0
	v_add_co_ci_u32_e32 v27, vcc_lo, 0, v1, vcc_lo
	v_add_co_u32 v30, vcc_lo, 0x3000, v0
	v_add_co_ci_u32_e32 v31, vcc_lo, 0, v1, vcc_lo
	v_add_co_u32 v34, vcc_lo, 0x3800, v0
	v_add_co_ci_u32_e32 v35, vcc_lo, 0, v1, vcc_lo
	v_add_co_u32 v38, vcc_lo, 0x4000, v0
	v_add_co_ci_u32_e32 v39, vcc_lo, 0, v1, vcc_lo
	s_clause 0x3
	global_load_dwordx4 v[2:5], v179, s[14:15]
	global_load_dwordx4 v[6:9], v179, s[14:15] offset:1936
	global_load_dwordx4 v[10:13], v[10:11], off offset:1824
	global_load_dwordx4 v[14:17], v[14:15], off offset:1712
	v_add_co_u32 v42, vcc_lo, 0x4800, v0
	v_add_co_ci_u32_e32 v43, vcc_lo, 0, v1, vcc_lo
	v_add_co_u32 v46, vcc_lo, 0x5000, v0
	s_clause 0x4
	global_load_dwordx4 v[18:21], v[18:19], off offset:1600
	global_load_dwordx4 v[22:25], v[22:23], off offset:1488
	;; [unrolled: 1-line block ×5, first 2 shown]
	v_add_co_ci_u32_e32 v47, vcc_lo, 0, v1, vcc_lo
	s_clause 0x2
	global_load_dwordx4 v[38:41], v[38:39], off offset:1040
	global_load_dwordx4 v[42:45], v[42:43], off offset:928
	;; [unrolled: 1-line block ×3, first 2 shown]
	v_mad_u64_u32 v[52:53], null, s4, v180, 0
	s_mul_i32 s0, s5, 0x790
	s_mul_hi_u32 s1, s4, 0x790
	s_mul_i32 s2, s4, 0x790
	s_add_i32 s3, s1, s0
	s_mov_b32 s0, 0x49b95e3b
	s_mov_b32 s1, 0x3f44d4df
	v_mad_u64_u32 v[54:55], null, s7, v132, v[51:52]
	v_mad_u64_u32 v[55:56], null, s5, v180, v[53:54]
	v_mov_b32_e32 v51, v54
	v_lshlrev_b64 v[50:51], 4, v[50:51]
	v_mov_b32_e32 v53, v55
	v_lshlrev_b64 v[52:53], 4, v[52:53]
	v_add_co_u32 v50, vcc_lo, s12, v50
	v_add_co_ci_u32_e32 v51, vcc_lo, s13, v51, vcc_lo
	v_add_co_u32 v102, vcc_lo, v50, v52
	v_add_co_ci_u32_e32 v103, vcc_lo, v51, v53, vcc_lo
	ds_read_b128 v[50:53], v179
	ds_read_b128 v[54:57], v179 offset:1936
	ds_read_b128 v[58:61], v179 offset:3872
	;; [unrolled: 1-line block ×11, first 2 shown]
	v_add_co_u32 v104, vcc_lo, v102, s2
	v_add_co_ci_u32_e32 v105, vcc_lo, s3, v103, vcc_lo
	ds_read_b128 v[98:101], v179 offset:23232
	v_add_co_u32 v106, vcc_lo, v104, s2
	v_add_co_ci_u32_e32 v107, vcc_lo, s3, v105, vcc_lo
	v_add_co_u32 v108, vcc_lo, v106, s2
	v_add_co_ci_u32_e32 v109, vcc_lo, s3, v107, vcc_lo
	;; [unrolled: 2-line block ×8, first 2 shown]
	s_waitcnt vmcnt(11) lgkmcnt(12)
	v_mul_f64 v[122:123], v[52:53], v[4:5]
	v_mul_f64 v[4:5], v[50:51], v[4:5]
	s_waitcnt vmcnt(10) lgkmcnt(11)
	v_mul_f64 v[124:125], v[56:57], v[8:9]
	v_mul_f64 v[8:9], v[54:55], v[8:9]
	;; [unrolled: 3-line block ×12, first 2 shown]
	v_fma_f64 v[50:51], v[50:51], v[2:3], v[122:123]
	v_fma_f64 v[4:5], v[2:3], v[52:53], -v[4:5]
	v_fma_f64 v[52:53], v[54:55], v[6:7], v[124:125]
	v_fma_f64 v[8:9], v[6:7], v[56:57], -v[8:9]
	;; [unrolled: 2-line block ×12, first 2 shown]
	v_mul_f64 v[2:3], v[50:51], s[0:1]
	v_mul_f64 v[4:5], v[4:5], s[0:1]
	;; [unrolled: 1-line block ×24, first 2 shown]
	v_add_co_u32 v50, vcc_lo, v120, s2
	v_add_co_ci_u32_e32 v51, vcc_lo, s3, v121, vcc_lo
	v_add_co_u32 v0, vcc_lo, 0x5800, v0
	v_add_co_ci_u32_e32 v1, vcc_lo, 0, v1, vcc_lo
	;; [unrolled: 2-line block ×3, first 2 shown]
	global_store_dwordx4 v[102:103], v[2:5], off
	global_store_dwordx4 v[104:105], v[6:9], off
	;; [unrolled: 1-line block ×12, first 2 shown]
	global_load_dwordx4 v[0:3], v[0:1], off offset:704
	s_waitcnt vmcnt(0) lgkmcnt(0)
	v_mul_f64 v[4:5], v[100:101], v[2:3]
	v_mul_f64 v[2:3], v[98:99], v[2:3]
	v_fma_f64 v[4:5], v[98:99], v[0:1], v[4:5]
	v_fma_f64 v[2:3], v[0:1], v[100:101], -v[2:3]
	v_mul_f64 v[0:1], v[4:5], s[0:1]
	v_mul_f64 v[2:3], v[2:3], s[0:1]
	v_add_co_u32 v4, vcc_lo, v52, s2
	v_add_co_ci_u32_e32 v5, vcc_lo, s3, v53, vcc_lo
	global_store_dwordx4 v[4:5], v[0:3], off
.LBB0_15:
	s_endpgm
	.section	.rodata,"a",@progbits
	.p2align	6, 0x0
	.amdhsa_kernel bluestein_single_back_len1573_dim1_dp_op_CI_CI
		.amdhsa_group_segment_fixed_size 25168
		.amdhsa_private_segment_fixed_size 0
		.amdhsa_kernarg_size 104
		.amdhsa_user_sgpr_count 6
		.amdhsa_user_sgpr_private_segment_buffer 1
		.amdhsa_user_sgpr_dispatch_ptr 0
		.amdhsa_user_sgpr_queue_ptr 0
		.amdhsa_user_sgpr_kernarg_segment_ptr 1
		.amdhsa_user_sgpr_dispatch_id 0
		.amdhsa_user_sgpr_flat_scratch_init 0
		.amdhsa_user_sgpr_private_segment_size 0
		.amdhsa_wavefront_size32 1
		.amdhsa_uses_dynamic_stack 0
		.amdhsa_system_sgpr_private_segment_wavefront_offset 0
		.amdhsa_system_sgpr_workgroup_id_x 1
		.amdhsa_system_sgpr_workgroup_id_y 0
		.amdhsa_system_sgpr_workgroup_id_z 0
		.amdhsa_system_sgpr_workgroup_info 0
		.amdhsa_system_vgpr_workitem_id 0
		.amdhsa_next_free_vgpr 241
		.amdhsa_next_free_sgpr 46
		.amdhsa_reserve_vcc 1
		.amdhsa_reserve_flat_scratch 0
		.amdhsa_float_round_mode_32 0
		.amdhsa_float_round_mode_16_64 0
		.amdhsa_float_denorm_mode_32 3
		.amdhsa_float_denorm_mode_16_64 3
		.amdhsa_dx10_clamp 1
		.amdhsa_ieee_mode 1
		.amdhsa_fp16_overflow 0
		.amdhsa_workgroup_processor_mode 1
		.amdhsa_memory_ordered 1
		.amdhsa_forward_progress 0
		.amdhsa_shared_vgpr_count 0
		.amdhsa_exception_fp_ieee_invalid_op 0
		.amdhsa_exception_fp_denorm_src 0
		.amdhsa_exception_fp_ieee_div_zero 0
		.amdhsa_exception_fp_ieee_overflow 0
		.amdhsa_exception_fp_ieee_underflow 0
		.amdhsa_exception_fp_ieee_inexact 0
		.amdhsa_exception_int_div_zero 0
	.end_amdhsa_kernel
	.text
.Lfunc_end0:
	.size	bluestein_single_back_len1573_dim1_dp_op_CI_CI, .Lfunc_end0-bluestein_single_back_len1573_dim1_dp_op_CI_CI
                                        ; -- End function
	.section	.AMDGPU.csdata,"",@progbits
; Kernel info:
; codeLenInByte = 24176
; NumSgprs: 48
; NumVgprs: 241
; ScratchSize: 0
; MemoryBound: 0
; FloatMode: 240
; IeeeMode: 1
; LDSByteSize: 25168 bytes/workgroup (compile time only)
; SGPRBlocks: 5
; VGPRBlocks: 30
; NumSGPRsForWavesPerEU: 48
; NumVGPRsForWavesPerEU: 241
; Occupancy: 4
; WaveLimiterHint : 1
; COMPUTE_PGM_RSRC2:SCRATCH_EN: 0
; COMPUTE_PGM_RSRC2:USER_SGPR: 6
; COMPUTE_PGM_RSRC2:TRAP_HANDLER: 0
; COMPUTE_PGM_RSRC2:TGID_X_EN: 1
; COMPUTE_PGM_RSRC2:TGID_Y_EN: 0
; COMPUTE_PGM_RSRC2:TGID_Z_EN: 0
; COMPUTE_PGM_RSRC2:TIDIG_COMP_CNT: 0
	.text
	.p2alignl 6, 3214868480
	.fill 48, 4, 3214868480
	.type	__hip_cuid_8e7edee9590e168d,@object ; @__hip_cuid_8e7edee9590e168d
	.section	.bss,"aw",@nobits
	.globl	__hip_cuid_8e7edee9590e168d
__hip_cuid_8e7edee9590e168d:
	.byte	0                               ; 0x0
	.size	__hip_cuid_8e7edee9590e168d, 1

	.ident	"AMD clang version 19.0.0git (https://github.com/RadeonOpenCompute/llvm-project roc-6.4.0 25133 c7fe45cf4b819c5991fe208aaa96edf142730f1d)"
	.section	".note.GNU-stack","",@progbits
	.addrsig
	.addrsig_sym __hip_cuid_8e7edee9590e168d
	.amdgpu_metadata
---
amdhsa.kernels:
  - .args:
      - .actual_access:  read_only
        .address_space:  global
        .offset:         0
        .size:           8
        .value_kind:     global_buffer
      - .actual_access:  read_only
        .address_space:  global
        .offset:         8
        .size:           8
        .value_kind:     global_buffer
      - .actual_access:  read_only
        .address_space:  global
        .offset:         16
        .size:           8
        .value_kind:     global_buffer
      - .actual_access:  read_only
        .address_space:  global
        .offset:         24
        .size:           8
        .value_kind:     global_buffer
      - .actual_access:  read_only
        .address_space:  global
        .offset:         32
        .size:           8
        .value_kind:     global_buffer
      - .offset:         40
        .size:           8
        .value_kind:     by_value
      - .address_space:  global
        .offset:         48
        .size:           8
        .value_kind:     global_buffer
      - .address_space:  global
        .offset:         56
        .size:           8
        .value_kind:     global_buffer
      - .address_space:  global
        .offset:         64
        .size:           8
        .value_kind:     global_buffer
      - .address_space:  global
        .offset:         72
        .size:           8
        .value_kind:     global_buffer
      - .offset:         80
        .size:           4
        .value_kind:     by_value
      - .address_space:  global
        .offset:         88
        .size:           8
        .value_kind:     global_buffer
      - .address_space:  global
        .offset:         96
        .size:           8
        .value_kind:     global_buffer
    .group_segment_fixed_size: 25168
    .kernarg_segment_align: 8
    .kernarg_segment_size: 104
    .language:       OpenCL C
    .language_version:
      - 2
      - 0
    .max_flat_workgroup_size: 143
    .name:           bluestein_single_back_len1573_dim1_dp_op_CI_CI
    .private_segment_fixed_size: 0
    .sgpr_count:     48
    .sgpr_spill_count: 0
    .symbol:         bluestein_single_back_len1573_dim1_dp_op_CI_CI.kd
    .uniform_work_group_size: 1
    .uses_dynamic_stack: false
    .vgpr_count:     241
    .vgpr_spill_count: 0
    .wavefront_size: 32
    .workgroup_processor_mode: 1
amdhsa.target:   amdgcn-amd-amdhsa--gfx1030
amdhsa.version:
  - 1
  - 2
...

	.end_amdgpu_metadata
